;; amdgpu-corpus repo=ROCm/rocFFT kind=compiled arch=gfx1030 opt=O3
	.text
	.amdgcn_target "amdgcn-amd-amdhsa--gfx1030"
	.amdhsa_code_object_version 6
	.protected	fft_rtc_fwd_len3456_factors_6_6_6_4_4_wgs_144_tpt_144_halfLds_sp_ip_CI_unitstride_sbrr_C2R_dirReg ; -- Begin function fft_rtc_fwd_len3456_factors_6_6_6_4_4_wgs_144_tpt_144_halfLds_sp_ip_CI_unitstride_sbrr_C2R_dirReg
	.globl	fft_rtc_fwd_len3456_factors_6_6_6_4_4_wgs_144_tpt_144_halfLds_sp_ip_CI_unitstride_sbrr_C2R_dirReg
	.p2align	8
	.type	fft_rtc_fwd_len3456_factors_6_6_6_4_4_wgs_144_tpt_144_halfLds_sp_ip_CI_unitstride_sbrr_C2R_dirReg,@function
fft_rtc_fwd_len3456_factors_6_6_6_4_4_wgs_144_tpt_144_halfLds_sp_ip_CI_unitstride_sbrr_C2R_dirReg: ; @fft_rtc_fwd_len3456_factors_6_6_6_4_4_wgs_144_tpt_144_halfLds_sp_ip_CI_unitstride_sbrr_C2R_dirReg
; %bb.0:
	s_clause 0x2
	s_load_dwordx4 s[8:11], s[4:5], 0x0
	s_load_dwordx2 s[2:3], s[4:5], 0x50
	s_load_dwordx2 s[12:13], s[4:5], 0x18
	v_mul_u32_u24_e32 v1, 0x1c8, v0
	v_mov_b32_e32 v3, 0
	v_add_nc_u32_sdwa v5, s6, v1 dst_sel:DWORD dst_unused:UNUSED_PAD src0_sel:DWORD src1_sel:WORD_1
	v_mov_b32_e32 v1, 0
	v_mov_b32_e32 v6, v3
	v_mov_b32_e32 v2, 0
	s_waitcnt lgkmcnt(0)
	v_cmp_lt_u64_e64 s0, s[10:11], 2
	s_and_b32 vcc_lo, exec_lo, s0
	s_cbranch_vccnz .LBB0_8
; %bb.1:
	s_load_dwordx2 s[0:1], s[4:5], 0x10
	v_mov_b32_e32 v1, 0
	s_add_u32 s6, s12, 8
	v_mov_b32_e32 v2, 0
	s_addc_u32 s7, s13, 0
	s_mov_b64 s[16:17], 1
	s_waitcnt lgkmcnt(0)
	s_add_u32 s14, s0, 8
	s_addc_u32 s15, s1, 0
.LBB0_2:                                ; =>This Inner Loop Header: Depth=1
	s_load_dwordx2 s[18:19], s[14:15], 0x0
                                        ; implicit-def: $vgpr7_vgpr8
	s_mov_b32 s0, exec_lo
	s_waitcnt lgkmcnt(0)
	v_or_b32_e32 v4, s19, v6
	v_cmpx_ne_u64_e32 0, v[3:4]
	s_xor_b32 s1, exec_lo, s0
	s_cbranch_execz .LBB0_4
; %bb.3:                                ;   in Loop: Header=BB0_2 Depth=1
	v_cvt_f32_u32_e32 v4, s18
	v_cvt_f32_u32_e32 v7, s19
	s_sub_u32 s0, 0, s18
	s_subb_u32 s20, 0, s19
	v_fmac_f32_e32 v4, 0x4f800000, v7
	v_rcp_f32_e32 v4, v4
	v_mul_f32_e32 v4, 0x5f7ffffc, v4
	v_mul_f32_e32 v7, 0x2f800000, v4
	v_trunc_f32_e32 v7, v7
	v_fmac_f32_e32 v4, 0xcf800000, v7
	v_cvt_u32_f32_e32 v7, v7
	v_cvt_u32_f32_e32 v4, v4
	v_mul_lo_u32 v8, s0, v7
	v_mul_hi_u32 v9, s0, v4
	v_mul_lo_u32 v10, s20, v4
	v_add_nc_u32_e32 v8, v9, v8
	v_mul_lo_u32 v9, s0, v4
	v_add_nc_u32_e32 v8, v8, v10
	v_mul_hi_u32 v10, v4, v9
	v_mul_lo_u32 v11, v4, v8
	v_mul_hi_u32 v12, v4, v8
	v_mul_hi_u32 v13, v7, v9
	v_mul_lo_u32 v9, v7, v9
	v_mul_hi_u32 v14, v7, v8
	v_mul_lo_u32 v8, v7, v8
	v_add_co_u32 v10, vcc_lo, v10, v11
	v_add_co_ci_u32_e32 v11, vcc_lo, 0, v12, vcc_lo
	v_add_co_u32 v9, vcc_lo, v10, v9
	v_add_co_ci_u32_e32 v9, vcc_lo, v11, v13, vcc_lo
	v_add_co_ci_u32_e32 v10, vcc_lo, 0, v14, vcc_lo
	v_add_co_u32 v8, vcc_lo, v9, v8
	v_add_co_ci_u32_e32 v9, vcc_lo, 0, v10, vcc_lo
	v_add_co_u32 v4, vcc_lo, v4, v8
	v_add_co_ci_u32_e32 v7, vcc_lo, v7, v9, vcc_lo
	v_mul_hi_u32 v8, s0, v4
	v_mul_lo_u32 v10, s20, v4
	v_mul_lo_u32 v9, s0, v7
	v_add_nc_u32_e32 v8, v8, v9
	v_mul_lo_u32 v9, s0, v4
	v_add_nc_u32_e32 v8, v8, v10
	v_mul_hi_u32 v10, v4, v9
	v_mul_lo_u32 v11, v4, v8
	v_mul_hi_u32 v12, v4, v8
	v_mul_hi_u32 v13, v7, v9
	v_mul_lo_u32 v9, v7, v9
	v_mul_hi_u32 v14, v7, v8
	v_mul_lo_u32 v8, v7, v8
	v_add_co_u32 v10, vcc_lo, v10, v11
	v_add_co_ci_u32_e32 v11, vcc_lo, 0, v12, vcc_lo
	v_add_co_u32 v9, vcc_lo, v10, v9
	v_add_co_ci_u32_e32 v9, vcc_lo, v11, v13, vcc_lo
	v_add_co_ci_u32_e32 v10, vcc_lo, 0, v14, vcc_lo
	v_add_co_u32 v8, vcc_lo, v9, v8
	v_add_co_ci_u32_e32 v9, vcc_lo, 0, v10, vcc_lo
	v_add_co_u32 v4, vcc_lo, v4, v8
	v_add_co_ci_u32_e32 v11, vcc_lo, v7, v9, vcc_lo
	v_mul_hi_u32 v13, v5, v4
	v_mad_u64_u32 v[9:10], null, v6, v4, 0
	v_mad_u64_u32 v[7:8], null, v5, v11, 0
	;; [unrolled: 1-line block ×3, first 2 shown]
	v_add_co_u32 v4, vcc_lo, v13, v7
	v_add_co_ci_u32_e32 v7, vcc_lo, 0, v8, vcc_lo
	v_add_co_u32 v4, vcc_lo, v4, v9
	v_add_co_ci_u32_e32 v4, vcc_lo, v7, v10, vcc_lo
	v_add_co_ci_u32_e32 v7, vcc_lo, 0, v12, vcc_lo
	v_add_co_u32 v4, vcc_lo, v4, v11
	v_add_co_ci_u32_e32 v9, vcc_lo, 0, v7, vcc_lo
	v_mul_lo_u32 v10, s19, v4
	v_mad_u64_u32 v[7:8], null, s18, v4, 0
	v_mul_lo_u32 v11, s18, v9
	v_sub_co_u32 v7, vcc_lo, v5, v7
	v_add3_u32 v8, v8, v11, v10
	v_sub_nc_u32_e32 v10, v6, v8
	v_subrev_co_ci_u32_e64 v10, s0, s19, v10, vcc_lo
	v_add_co_u32 v11, s0, v4, 2
	v_add_co_ci_u32_e64 v12, s0, 0, v9, s0
	v_sub_co_u32 v13, s0, v7, s18
	v_sub_co_ci_u32_e32 v8, vcc_lo, v6, v8, vcc_lo
	v_subrev_co_ci_u32_e64 v10, s0, 0, v10, s0
	v_cmp_le_u32_e32 vcc_lo, s18, v13
	v_cmp_eq_u32_e64 s0, s19, v8
	v_cndmask_b32_e64 v13, 0, -1, vcc_lo
	v_cmp_le_u32_e32 vcc_lo, s19, v10
	v_cndmask_b32_e64 v14, 0, -1, vcc_lo
	v_cmp_le_u32_e32 vcc_lo, s18, v7
	;; [unrolled: 2-line block ×3, first 2 shown]
	v_cndmask_b32_e64 v15, 0, -1, vcc_lo
	v_cmp_eq_u32_e32 vcc_lo, s19, v10
	v_cndmask_b32_e64 v7, v15, v7, s0
	v_cndmask_b32_e32 v10, v14, v13, vcc_lo
	v_add_co_u32 v13, vcc_lo, v4, 1
	v_add_co_ci_u32_e32 v14, vcc_lo, 0, v9, vcc_lo
	v_cmp_ne_u32_e32 vcc_lo, 0, v10
	v_cndmask_b32_e32 v8, v14, v12, vcc_lo
	v_cndmask_b32_e32 v10, v13, v11, vcc_lo
	v_cmp_ne_u32_e32 vcc_lo, 0, v7
	v_cndmask_b32_e32 v8, v9, v8, vcc_lo
	v_cndmask_b32_e32 v7, v4, v10, vcc_lo
.LBB0_4:                                ;   in Loop: Header=BB0_2 Depth=1
	s_andn2_saveexec_b32 s0, s1
	s_cbranch_execz .LBB0_6
; %bb.5:                                ;   in Loop: Header=BB0_2 Depth=1
	v_cvt_f32_u32_e32 v4, s18
	s_sub_i32 s1, 0, s18
	v_rcp_iflag_f32_e32 v4, v4
	v_mul_f32_e32 v4, 0x4f7ffffe, v4
	v_cvt_u32_f32_e32 v4, v4
	v_mul_lo_u32 v7, s1, v4
	v_mul_hi_u32 v7, v4, v7
	v_add_nc_u32_e32 v4, v4, v7
	v_mul_hi_u32 v4, v5, v4
	v_mul_lo_u32 v7, v4, s18
	v_add_nc_u32_e32 v8, 1, v4
	v_sub_nc_u32_e32 v7, v5, v7
	v_subrev_nc_u32_e32 v9, s18, v7
	v_cmp_le_u32_e32 vcc_lo, s18, v7
	v_cndmask_b32_e32 v7, v7, v9, vcc_lo
	v_cndmask_b32_e32 v4, v4, v8, vcc_lo
	v_cmp_le_u32_e32 vcc_lo, s18, v7
	v_add_nc_u32_e32 v8, 1, v4
	v_cndmask_b32_e32 v7, v4, v8, vcc_lo
	v_mov_b32_e32 v8, v3
.LBB0_6:                                ;   in Loop: Header=BB0_2 Depth=1
	s_or_b32 exec_lo, exec_lo, s0
	s_load_dwordx2 s[0:1], s[6:7], 0x0
	v_mul_lo_u32 v4, v8, s18
	v_mul_lo_u32 v11, v7, s19
	v_mad_u64_u32 v[9:10], null, v7, s18, 0
	s_add_u32 s16, s16, 1
	s_addc_u32 s17, s17, 0
	s_add_u32 s6, s6, 8
	s_addc_u32 s7, s7, 0
	;; [unrolled: 2-line block ×3, first 2 shown]
	v_add3_u32 v4, v10, v11, v4
	v_sub_co_u32 v5, vcc_lo, v5, v9
	v_sub_co_ci_u32_e32 v4, vcc_lo, v6, v4, vcc_lo
	s_waitcnt lgkmcnt(0)
	v_mul_lo_u32 v6, s1, v5
	v_mul_lo_u32 v4, s0, v4
	v_mad_u64_u32 v[1:2], null, s0, v5, v[1:2]
	v_cmp_ge_u64_e64 s0, s[16:17], s[10:11]
	s_and_b32 vcc_lo, exec_lo, s0
	v_add3_u32 v2, v6, v2, v4
	s_cbranch_vccnz .LBB0_9
; %bb.7:                                ;   in Loop: Header=BB0_2 Depth=1
	v_mov_b32_e32 v5, v7
	v_mov_b32_e32 v6, v8
	s_branch .LBB0_2
.LBB0_8:
	v_mov_b32_e32 v8, v6
	v_mov_b32_e32 v7, v5
.LBB0_9:
	s_lshl_b64 s[0:1], s[10:11], 3
	v_mul_hi_u32 v5, 0x1c71c72, v0
	s_add_u32 s0, s12, s0
	s_addc_u32 s1, s13, s1
	s_load_dwordx2 s[0:1], s[0:1], 0x0
	s_load_dwordx2 s[4:5], s[4:5], 0x20
	s_waitcnt lgkmcnt(0)
	v_mul_lo_u32 v3, s0, v8
	v_mul_lo_u32 v4, s1, v7
	v_mad_u64_u32 v[1:2], null, s0, v7, v[1:2]
	v_cmp_gt_u64_e32 vcc_lo, s[4:5], v[7:8]
	v_add3_u32 v2, v4, v2, v3
	v_mul_u32_u24_e32 v3, 0x90, v5
	v_lshlrev_b64 v[38:39], 3, v[1:2]
	v_sub_nc_u32_e32 v36, v0, v3
	s_and_saveexec_b32 s1, vcc_lo
	s_cbranch_execz .LBB0_13
; %bb.10:
	v_mov_b32_e32 v37, 0
	v_add_co_u32 v0, s0, s2, v38
	v_add_co_ci_u32_e64 v1, s0, s3, v39, s0
	v_lshlrev_b64 v[2:3], 3, v[36:37]
	v_or_b32_e32 v32, 0x900, v36
	v_mov_b32_e32 v33, v37
	v_lshl_add_u32 v54, v36, 3, 0
	v_add_co_u32 v2, s0, v0, v2
	v_add_co_ci_u32_e64 v3, s0, v1, v3, s0
	v_lshlrev_b64 v[32:33], 3, v[32:33]
	v_add_co_u32 v4, s0, 0x800, v2
	v_add_co_ci_u32_e64 v5, s0, 0, v3, s0
	v_add_co_u32 v6, s0, 0x1000, v2
	v_add_co_ci_u32_e64 v7, s0, 0, v3, s0
	;; [unrolled: 2-line block ×12, first 2 shown]
	s_clause 0x3
	global_load_dwordx2 v[8:9], v[2:3], off
	global_load_dwordx2 v[10:11], v[2:3], off offset:1152
	global_load_dwordx2 v[12:13], v[4:5], off offset:256
	;; [unrolled: 1-line block ×3, first 2 shown]
	v_add_co_u32 v2, s0, 0x6000, v2
	v_add_co_ci_u32_e64 v3, s0, 0, v3, s0
	s_clause 0x13
	global_load_dwordx2 v[22:23], v[6:7], off offset:512
	global_load_dwordx2 v[6:7], v[6:7], off offset:1664
	;; [unrolled: 1-line block ×12, first 2 shown]
	global_load_dwordx2 v[32:33], v[32:33], off
	global_load_dwordx2 v[42:43], v[42:43], off offset:1152
	global_load_dwordx2 v[48:49], v[44:45], off offset:256
	;; [unrolled: 1-line block ×7, first 2 shown]
	v_cmp_eq_u32_e64 s0, 0x8f, v36
	v_add_nc_u32_e32 v55, 0x800, v54
	v_add_nc_u32_e32 v56, 0x1000, v54
	;; [unrolled: 1-line block ×11, first 2 shown]
	s_waitcnt vmcnt(22)
	ds_write2_b64 v54, v[8:9], v[10:11] offset1:144
	s_waitcnt vmcnt(20)
	ds_write2_b64 v55, v[12:13], v[4:5] offset0:32 offset1:176
	s_waitcnt vmcnt(18)
	ds_write2_b64 v56, v[22:23], v[6:7] offset0:64 offset1:208
	s_waitcnt vmcnt(16)
	ds_write2_b64 v57, v[24:25], v[14:15] offset0:96 offset1:240
	s_waitcnt vmcnt(14)
	ds_write2_b64 v58, v[16:17], v[26:27] offset1:144
	s_waitcnt vmcnt(12)
	ds_write2_b64 v59, v[18:19], v[28:29] offset0:32 offset1:176
	s_waitcnt vmcnt(10)
	ds_write2_b64 v60, v[20:21], v[40:41] offset0:64 offset1:208
	s_waitcnt vmcnt(8)
	ds_write2_b64 v61, v[30:31], v[34:35] offset0:96 offset1:240
	;; [unrolled: 8-line block ×3, first 2 shown]
	s_and_saveexec_b32 s4, s0
	s_cbranch_execz .LBB0_12
; %bb.11:
	v_add_co_u32 v0, s0, 0x6800, v0
	v_add_co_ci_u32_e64 v1, s0, 0, v1, s0
	v_mov_b32_e32 v36, 0x8f
	global_load_dwordx2 v[0:1], v[0:1], off offset:1024
	s_waitcnt vmcnt(0)
	ds_write_b64 v37, v[0:1] offset:27648
.LBB0_12:
	s_or_b32 exec_lo, exec_lo, s4
.LBB0_13:
	s_or_b32 exec_lo, exec_lo, s1
	v_lshlrev_b32_e32 v0, 3, v36
	s_waitcnt lgkmcnt(0)
	s_barrier
	buffer_gl0_inv
	s_add_u32 s1, s8, 0x6bd0
	v_add_nc_u32_e32 v48, 0, v0
	v_sub_nc_u32_e32 v4, 0, v0
	s_addc_u32 s4, s9, 0
	s_mov_b32 s5, exec_lo
                                        ; implicit-def: $vgpr2_vgpr3
	ds_read_b32 v5, v48
	ds_read_b32 v6, v4 offset:27648
	s_waitcnt lgkmcnt(0)
	v_add_f32_e32 v0, v6, v5
	v_sub_f32_e32 v1, v5, v6
	v_cmpx_ne_u32_e32 0, v36
	s_xor_b32 s5, exec_lo, s5
	s_cbranch_execz .LBB0_15
; %bb.14:
	v_mov_b32_e32 v37, 0
	v_add_f32_e32 v7, v6, v5
	v_sub_f32_e32 v8, v5, v6
	v_lshlrev_b64 v[0:1], 3, v[36:37]
	v_add_co_u32 v0, s0, s1, v0
	v_add_co_ci_u32_e64 v1, s0, s4, v1, s0
	global_load_dwordx2 v[2:3], v[0:1], off
	ds_read_b32 v0, v4 offset:27652
	ds_read_b32 v1, v48 offset:4
	s_waitcnt lgkmcnt(0)
	v_add_f32_e32 v9, v0, v1
	v_sub_f32_e32 v0, v1, v0
	s_waitcnt vmcnt(0)
	v_fma_f32 v5, -v8, v3, v7
	v_fma_f32 v6, v9, v3, -v0
	v_fma_f32 v10, v8, v3, v7
	v_fma_f32 v1, v9, v3, v0
	v_fmac_f32_e32 v5, v2, v9
	v_fmac_f32_e32 v6, v8, v2
	v_fma_f32 v0, -v2, v9, v10
	v_fmac_f32_e32 v1, v8, v2
	v_mov_b32_e32 v2, v36
	v_mov_b32_e32 v3, v37
	ds_write_b64 v4, v[5:6] offset:27648
.LBB0_15:
	s_andn2_saveexec_b32 s0, s5
	s_cbranch_execz .LBB0_17
; %bb.16:
	v_mov_b32_e32 v7, 0
	ds_read_b64 v[2:3], v7 offset:13824
	s_waitcnt lgkmcnt(0)
	v_add_f32_e32 v5, v2, v2
	v_mul_f32_e32 v6, -2.0, v3
	v_mov_b32_e32 v2, 0
	v_mov_b32_e32 v3, 0
	ds_write_b64 v7, v[5:6] offset:13824
.LBB0_17:
	s_or_b32 exec_lo, exec_lo, s0
	v_lshlrev_b64 v[2:3], 3, v[2:3]
	v_add_nc_u32_e32 v49, 0x3400, v48
	v_add_nc_u32_e32 v54, 0x5800, v48
	v_add_nc_u32_e32 v37, 0x1000, v48
	v_add_nc_u32_e32 v52, 0x800, v48
	v_add_nc_u32_e32 v51, 0x2400, v48
	v_add_co_u32 v2, s0, s1, v2
	v_add_co_ci_u32_e64 v3, s0, s4, v3, s0
	v_add_nc_u32_e32 v53, 0x1800, v48
	v_add_co_u32 v7, s0, 0x800, v2
	global_load_dwordx2 v[5:6], v[2:3], off offset:1152
	v_add_co_ci_u32_e64 v8, s0, 0, v3, s0
	v_add_co_u32 v11, s0, 0x1000, v2
	s_clause 0x1
	global_load_dwordx2 v[9:10], v[7:8], off offset:256
	global_load_dwordx2 v[7:8], v[7:8], off offset:1408
	v_add_co_ci_u32_e64 v12, s0, 0, v3, s0
	s_clause 0x1
	global_load_dwordx2 v[13:14], v[11:12], off offset:512
	global_load_dwordx2 v[11:12], v[11:12], off offset:1664
	v_add_co_u32 v15, s0, 0x1800, v2
	v_add_co_ci_u32_e64 v16, s0, 0, v3, s0
	s_clause 0x1
	global_load_dwordx2 v[17:18], v[15:16], off offset:768
	global_load_dwordx2 v[15:16], v[15:16], off offset:1920
	ds_write_b64 v48, v[0:1]
	v_add_co_u32 v0, s0, 0x2000, v2
	v_add_co_ci_u32_e64 v1, s0, 0, v3, s0
	ds_read_b64 v[19:20], v48 offset:1152
	ds_read_b64 v[21:22], v4 offset:26496
	v_add_nc_u32_e32 v50, 0x4800, v48
	v_add_nc_u32_e32 v55, 0x2c00, v48
	global_load_dwordx2 v[0:1], v[0:1], off offset:1024
	v_add_nc_u32_e32 v56, 0x3c00, v48
	v_add_nc_u32_e32 v57, 0x5000, v48
	;; [unrolled: 1-line block ×3, first 2 shown]
	v_and_b32_e32 v60, 0xff, v36
	v_add_nc_u32_e32 v59, 0x90, v36
	v_mov_b32_e32 v72, 0xaaab
	v_mov_b32_e32 v44, 5
	v_mul_lo_u16 v46, 0xab, v60
	v_mul_u32_u24_sdwa v47, v59, v72 dst_sel:DWORD dst_unused:UNUSED_PAD src0_sel:WORD_0 src1_sel:DWORD
	v_lshrrev_b16 v46, 10, v46
	v_lshrrev_b32_e32 v47, 18, v47
	s_waitcnt lgkmcnt(0)
	v_add_f32_e32 v23, v19, v21
	v_add_f32_e32 v24, v22, v20
	v_sub_f32_e32 v25, v19, v21
	v_sub_f32_e32 v19, v20, v22
	s_waitcnt vmcnt(7)
	v_fma_f32 v26, v25, v6, v23
	v_fma_f32 v20, v24, v6, v19
	v_fma_f32 v21, -v25, v6, v23
	v_fma_f32 v22, v24, v6, -v19
	v_fma_f32 v19, -v5, v24, v26
	v_fmac_f32_e32 v20, v25, v5
	v_fmac_f32_e32 v21, v5, v24
	;; [unrolled: 1-line block ×3, first 2 shown]
	v_add_co_u32 v5, s0, 0x2800, v2
	v_add_co_ci_u32_e64 v6, s0, 0, v3, s0
	ds_write_b64 v48, v[19:20] offset:1152
	ds_write_b64 v4, v[21:22] offset:26496
	ds_read_b64 v[19:20], v48 offset:2304
	ds_read_b64 v[21:22], v4 offset:25344
	v_add_co_u32 v2, s0, 0x3000, v2
	global_load_dwordx2 v[23:24], v[5:6], off offset:128
	v_add_co_ci_u32_e64 v3, s0, 0, v3, s0
	v_cmp_gt_u32_e64 s0, 0x48, v36
	s_waitcnt lgkmcnt(0)
	v_add_f32_e32 v25, v19, v21
	v_add_f32_e32 v26, v22, v20
	v_sub_f32_e32 v27, v19, v21
	v_sub_f32_e32 v19, v20, v22
	s_waitcnt vmcnt(7)
	v_fma_f32 v28, v27, v10, v25
	v_fma_f32 v20, v26, v10, v19
	v_fma_f32 v21, -v27, v10, v25
	v_fma_f32 v22, v26, v10, -v19
	v_fma_f32 v19, -v9, v26, v28
	v_fmac_f32_e32 v20, v27, v9
	v_fmac_f32_e32 v21, v9, v26
	;; [unrolled: 1-line block ×3, first 2 shown]
	ds_write_b64 v48, v[19:20] offset:2304
	ds_write_b64 v4, v[21:22] offset:25344
	ds_read_b64 v[9:10], v48 offset:3456
	ds_read_b64 v[19:20], v4 offset:24192
	global_load_dwordx2 v[5:6], v[5:6], off offset:1280
	s_waitcnt lgkmcnt(0)
	v_add_f32_e32 v21, v9, v19
	v_add_f32_e32 v22, v20, v10
	v_sub_f32_e32 v25, v9, v19
	v_sub_f32_e32 v10, v10, v20
	s_waitcnt vmcnt(7)
	v_fma_f32 v26, v25, v8, v21
	v_fma_f32 v9, v22, v8, v10
	v_fma_f32 v19, -v25, v8, v21
	v_fma_f32 v20, v22, v8, -v10
	v_fma_f32 v8, -v7, v22, v26
	v_fmac_f32_e32 v9, v25, v7
	v_fmac_f32_e32 v19, v7, v22
	;; [unrolled: 1-line block ×3, first 2 shown]
	ds_write_b64 v48, v[8:9] offset:3456
	ds_write_b64 v4, v[19:20] offset:24192
	ds_read_b64 v[7:8], v48 offset:4608
	ds_read_b64 v[9:10], v4 offset:23040
	global_load_dwordx2 v[2:3], v[2:3], off offset:384
	s_waitcnt lgkmcnt(0)
	v_add_f32_e32 v19, v7, v9
	v_add_f32_e32 v20, v10, v8
	v_sub_f32_e32 v21, v7, v9
	v_sub_f32_e32 v7, v8, v10
	s_waitcnt vmcnt(7)
	v_fma_f32 v22, v21, v14, v19
	v_fma_f32 v8, v20, v14, v7
	v_fma_f32 v9, -v21, v14, v19
	v_fma_f32 v10, v20, v14, -v7
	v_fma_f32 v7, -v13, v20, v22
	v_fmac_f32_e32 v8, v21, v13
	v_fmac_f32_e32 v9, v13, v20
	v_fmac_f32_e32 v10, v21, v13
	ds_write_b64 v48, v[7:8] offset:4608
	ds_write_b64 v4, v[9:10] offset:23040
	ds_read_b64 v[7:8], v48 offset:5760
	ds_read_b64 v[9:10], v4 offset:21888
	s_waitcnt lgkmcnt(0)
	v_add_f32_e32 v13, v7, v9
	v_add_f32_e32 v14, v10, v8
	v_sub_f32_e32 v19, v7, v9
	v_sub_f32_e32 v7, v8, v10
	s_waitcnt vmcnt(6)
	v_fma_f32 v20, v19, v12, v13
	v_fma_f32 v8, v14, v12, v7
	v_fma_f32 v9, -v19, v12, v13
	v_fma_f32 v10, v14, v12, -v7
	v_fma_f32 v7, -v11, v14, v20
	v_fmac_f32_e32 v8, v19, v11
	v_fmac_f32_e32 v9, v11, v14
	v_fmac_f32_e32 v10, v19, v11
	ds_write_b64 v48, v[7:8] offset:5760
	ds_write_b64 v4, v[9:10] offset:21888
	ds_read_b64 v[7:8], v48 offset:6912
	ds_read_b64 v[9:10], v4 offset:20736
	;; [unrolled: 18-line block ×5, first 2 shown]
	s_waitcnt lgkmcnt(0)
	v_add_f32_e32 v9, v0, v7
	v_add_f32_e32 v10, v8, v1
	v_sub_f32_e32 v11, v0, v7
	v_sub_f32_e32 v0, v1, v8
	s_waitcnt vmcnt(2)
	v_fma_f32 v12, v11, v24, v9
	v_fma_f32 v1, v10, v24, v0
	v_fma_f32 v7, -v11, v24, v9
	v_fma_f32 v8, v10, v24, -v0
	v_mul_u32_u24_e32 v24, 6, v36
	v_fma_f32 v0, -v23, v10, v12
	v_fmac_f32_e32 v1, v11, v23
	v_fmac_f32_e32 v7, v23, v10
	;; [unrolled: 1-line block ×3, first 2 shown]
	ds_write_b64 v48, v[0:1] offset:10368
	ds_write_b64 v4, v[7:8] offset:17280
	ds_read_b64 v[0:1], v48 offset:11520
	ds_read_b64 v[7:8], v4 offset:16128
	v_lshl_add_u32 v45, v24, 3, 0
	v_add_nc_u32_e32 v93, 0x3620, v45
	v_add_nc_u32_e32 v94, 0x5100, v45
	;; [unrolled: 1-line block ×3, first 2 shown]
	s_waitcnt lgkmcnt(0)
	v_add_f32_e32 v9, v0, v7
	v_add_f32_e32 v10, v8, v1
	v_sub_f32_e32 v11, v0, v7
	v_sub_f32_e32 v0, v1, v8
	s_waitcnt vmcnt(1)
	v_fma_f32 v12, v11, v6, v9
	v_fma_f32 v1, v10, v6, v0
	v_fma_f32 v7, -v11, v6, v9
	v_fma_f32 v8, v10, v6, -v0
	v_fma_f32 v0, -v5, v10, v12
	v_fmac_f32_e32 v1, v11, v5
	v_fmac_f32_e32 v7, v5, v10
	;; [unrolled: 1-line block ×3, first 2 shown]
	ds_write_b64 v48, v[0:1] offset:11520
	ds_write_b64 v4, v[7:8] offset:16128
	ds_read_b64 v[0:1], v48 offset:12672
	ds_read_b64 v[5:6], v4 offset:14976
	s_waitcnt lgkmcnt(0)
	v_add_f32_e32 v7, v0, v5
	v_add_f32_e32 v8, v6, v1
	v_sub_f32_e32 v9, v0, v5
	v_sub_f32_e32 v0, v1, v6
	s_waitcnt vmcnt(0)
	v_fma_f32 v10, v9, v3, v7
	v_fma_f32 v1, v8, v3, v0
	v_fma_f32 v5, -v9, v3, v7
	v_fma_f32 v6, v8, v3, -v0
	v_fma_f32 v0, -v2, v8, v10
	v_fmac_f32_e32 v1, v9, v2
	v_fmac_f32_e32 v5, v2, v8
	;; [unrolled: 1-line block ×3, first 2 shown]
	ds_write_b64 v48, v[0:1] offset:12672
	ds_write_b64 v4, v[5:6] offset:14976
	s_waitcnt lgkmcnt(0)
	s_barrier
	buffer_gl0_inv
	s_barrier
	buffer_gl0_inv
	ds_read2_b64 v[0:3], v49 offset0:64 offset1:208
	ds_read2_b64 v[4:7], v54 offset0:64 offset1:208
	ds_read2_b64 v[8:11], v37 offset0:64 offset1:208
	ds_read2_b64 v[12:15], v51 offset1:144
	ds_read2_b64 v[16:19], v50 offset1:144
	;; [unrolled: 1-line block ×3, first 2 shown]
	ds_read2_b64 v[24:27], v52 offset0:32 offset1:176
	ds_read2_b64 v[28:31], v53 offset0:96 offset1:240
	;; [unrolled: 1-line block ×6, first 2 shown]
	s_waitcnt lgkmcnt(0)
	s_barrier
	buffer_gl0_inv
	v_add_f32_e32 v82, v8, v0
	v_add_f32_e32 v83, v0, v4
	v_sub_f32_e32 v86, v0, v4
	v_add_f32_e32 v0, v24, v32
	v_add_f32_e32 v78, v20, v12
	;; [unrolled: 1-line block ×4, first 2 shown]
	v_sub_f32_e32 v71, v3, v7
	v_add_f32_e32 v3, v11, v3
	v_sub_f32_e32 v73, v2, v6
	v_add_f32_e32 v75, v23, v15
	v_add_f32_e32 v2, v10, v2
	v_add_f32_e32 v84, v9, v1
	v_add_f32_e32 v87, v32, v61
	v_sub_f32_e32 v32, v32, v61
	v_add_f32_e32 v90, v26, v34
	v_add_f32_e32 v61, v0, v61
	;; [unrolled: 1-line block ×5, first 2 shown]
	v_sub_f32_e32 v12, v12, v16
	v_add_f32_e32 v16, v78, v16
	v_add_f32_e32 v78, v27, v35
	;; [unrolled: 1-line block ×3, first 2 shown]
	v_sub_f32_e32 v15, v15, v19
	v_sub_f32_e32 v85, v1, v5
	v_add_f32_e32 v1, v1, v5
	v_add_f32_e32 v19, v75, v19
	;; [unrolled: 1-line block ×3, first 2 shown]
	v_sub_f32_e32 v34, v34, v63
	v_sub_f32_e32 v92, v41, v66
	v_add_f32_e32 v2, v2, v6
	v_add_f32_e32 v3, v3, v7
	;; [unrolled: 1-line block ×8, first 2 shown]
	v_sub_f32_e32 v63, v43, v68
	v_fma_f32 v70, -0.5, v70, v10
	v_fma_f32 v30, -0.5, v0, v30
	v_mul_lo_u16 v0, v46, 6
	v_add_f32_e32 v77, v14, v18
	v_sub_f32_e32 v14, v14, v18
	v_add_f32_e32 v80, v21, v13
	v_add_f32_e32 v18, v76, v18
	v_sub_f32_e32 v76, v35, v64
	v_add_f32_e32 v35, v35, v64
	v_add_f32_e32 v64, v78, v64
	;; [unrolled: 1-line block ×6, first 2 shown]
	v_fmac_f32_e32 v11, -0.5, v69
	v_fmamk_f32 v69, v71, 0x3f5db3d7, v70
	v_fmac_f32_e32 v70, 0xbf5db3d7, v71
	v_fmamk_f32 v71, v63, 0x3f5db3d7, v30
	v_fmac_f32_e32 v30, 0xbf5db3d7, v63
	v_sub_nc_u16 v63, v36, v0
	v_sub_f32_e32 v81, v13, v17
	v_add_f32_e32 v13, v13, v17
	v_sub_f32_e32 v88, v33, v62
	v_add_f32_e32 v33, v33, v62
	v_add_f32_e32 v17, v80, v17
	;; [unrolled: 1-line block ×3, first 2 shown]
	v_sub_f32_e32 v42, v42, v67
	v_fmac_f32_e32 v31, -0.5, v43
	v_fma_f32 v83, -0.5, v83, v8
	v_fma_f32 v95, -0.5, v1, v9
	v_sub_f32_e32 v40, v40, v65
	v_mul_lo_u16 v1, v47, 6
	v_fma_f32 v29, -0.5, v5, v29
	v_add_f32_e32 v62, v89, v62
	v_add_f32_e32 v66, v4, v66
	v_fmamk_f32 v43, v73, 0xbf5db3d7, v11
	v_fmac_f32_e32 v11, 0x3f5db3d7, v73
	v_mul_f32_e32 v73, -0.5, v70
	v_mul_u32_u24_sdwa v0, v63, v44 dst_sel:DWORD dst_unused:UNUSED_PAD src0_sel:BYTE_0 src1_sel:DWORD
	v_fma_f32 v28, -0.5, v91, v28
	v_fmac_f32_e32 v27, -0.5, v35
	v_add_f32_e32 v65, v80, v65
	v_add_f32_e32 v41, v41, v67
	v_add_f32_e32 v68, v78, v68
	v_fmamk_f32 v97, v42, 0xbf5db3d7, v31
	v_fmac_f32_e32 v31, 0x3f5db3d7, v42
	v_mul_f32_e32 v98, -0.5, v30
	v_fmac_f32_e32 v23, -0.5, v74
	v_fma_f32 v22, -0.5, v77, v22
	v_fma_f32 v42, -0.5, v13, v21
	v_fma_f32 v74, -0.5, v33, v25
	v_add_f32_e32 v4, v16, v6
	v_add_f32_e32 v5, v17, v7
	v_sub_f32_e32 v6, v16, v6
	v_sub_f32_e32 v7, v17, v7
	v_fmamk_f32 v16, v86, 0xbf5db3d7, v95
	v_fmamk_f32 v17, v85, 0x3f5db3d7, v83
	v_sub_nc_u16 v67, v59, v1
	v_add_f32_e32 v1, v19, v3
	v_sub_f32_e32 v3, v19, v3
	v_fmac_f32_e32 v83, 0xbf5db3d7, v85
	v_fmac_f32_e32 v95, 0x3f5db3d7, v86
	v_fmamk_f32 v19, v40, 0xbf5db3d7, v29
	v_fmac_f32_e32 v29, 0x3f5db3d7, v40
	v_mul_f32_e32 v40, 0xbf5db3d7, v69
	v_fmac_f32_e32 v73, 0x3f5db3d7, v11
	v_mul_f32_e32 v96, -0.5, v11
	v_lshlrev_b32_e32 v101, 3, v0
	v_add_f32_e32 v0, v18, v2
	v_sub_f32_e32 v2, v18, v2
	v_add_f32_e32 v9, v62, v66
	v_sub_f32_e32 v11, v62, v66
	v_fmamk_f32 v66, v34, 0xbf5db3d7, v27
	v_fmac_f32_e32 v27, 0x3f5db3d7, v34
	v_fmamk_f32 v18, v92, 0x3f5db3d7, v28
	v_fmac_f32_e32 v28, 0xbf5db3d7, v92
	v_mul_f32_e32 v34, 0x3f5db3d7, v43
	v_fma_f32 v20, -0.5, v79, v20
	v_fma_f32 v75, -0.5, v75, v26
	v_fmac_f32_e32 v98, 0x3f5db3d7, v31
	v_mul_f32_e32 v31, -0.5, v31
	v_fmamk_f32 v35, v15, 0x3f5db3d7, v22
	v_fmamk_f32 v77, v14, 0xbf5db3d7, v23
	v_fmac_f32_e32 v22, 0xbf5db3d7, v15
	v_fmac_f32_e32 v23, 0x3f5db3d7, v14
	v_add_f32_e32 v8, v61, v65
	v_sub_f32_e32 v10, v61, v65
	v_fmamk_f32 v61, v12, 0xbf5db3d7, v42
	v_fmac_f32_e32 v42, 0x3f5db3d7, v12
	v_add_f32_e32 v12, v82, v41
	v_add_f32_e32 v13, v64, v68
	v_sub_f32_e32 v14, v82, v41
	v_sub_f32_e32 v15, v64, v68
	v_fmamk_f32 v64, v32, 0xbf5db3d7, v74
	v_fmac_f32_e32 v74, 0x3f5db3d7, v32
	v_mul_f32_e32 v32, 0x3f5db3d7, v16
	v_mul_f32_e32 v41, 0xbf5db3d7, v17
	v_fmac_f32_e32 v40, 0.5, v43
	v_mul_f32_e32 v43, -0.5, v83
	v_mul_f32_e32 v65, -0.5, v95
	v_fma_f32 v24, -0.5, v87, v24
	v_fmac_f32_e32 v34, 0.5, v69
	v_mul_f32_e32 v69, -0.5, v28
	v_fmamk_f32 v33, v81, 0x3f5db3d7, v20
	v_fmac_f32_e32 v20, 0xbf5db3d7, v81
	v_fmamk_f32 v79, v76, 0x3f5db3d7, v75
	v_fmac_f32_e32 v75, 0xbf5db3d7, v76
	v_fmac_f32_e32 v96, 0xbf5db3d7, v70
	v_mul_f32_e32 v68, 0x3f5db3d7, v19
	v_mul_f32_e32 v70, 0xbf5db3d7, v18
	v_mul_f32_e32 v76, -0.5, v29
	v_mul_f32_e32 v81, 0x3f5db3d7, v97
	v_mul_f32_e32 v82, 0xbf5db3d7, v71
	v_fmac_f32_e32 v32, 0.5, v17
	v_fmac_f32_e32 v41, 0.5, v16
	v_fmac_f32_e32 v31, 0xbf5db3d7, v30
	v_fmac_f32_e32 v43, 0x3f5db3d7, v95
	;; [unrolled: 1-line block ×3, first 2 shown]
	v_fmamk_f32 v62, v88, 0x3f5db3d7, v24
	v_fmac_f32_e32 v24, 0xbf5db3d7, v88
	v_fmac_f32_e32 v69, 0x3f5db3d7, v29
	v_add_nc_u32_e32 v84, 0x1b00, v45
	v_mul_u32_u24_sdwa v100, v67, v44 dst_sel:DWORD dst_unused:UNUSED_PAD src0_sel:WORD_0 src1_sel:DWORD
	v_fmac_f32_e32 v68, 0.5, v18
	v_fmac_f32_e32 v70, 0.5, v19
	v_fmac_f32_e32 v76, 0xbf5db3d7, v28
	v_fmac_f32_e32 v81, 0.5, v71
	v_fmac_f32_e32 v82, 0.5, v97
	v_add_f32_e32 v16, v35, v34
	v_add_f32_e32 v17, v77, v40
	v_add_nc_u32_e32 v89, 0x1b10, v45
	v_add_f32_e32 v18, v22, v73
	v_add_f32_e32 v19, v23, v96
	v_sub_f32_e32 v21, v23, v96
	v_add_f32_e32 v23, v27, v31
	v_sub_f32_e32 v25, v27, v31
	v_add_f32_e32 v26, v33, v32
	v_add_f32_e32 v27, v61, v41
	;; [unrolled: 1-line block ×4, first 2 shown]
	v_sub_f32_e32 v28, v33, v32
	v_sub_f32_e32 v29, v61, v41
	;; [unrolled: 1-line block ×5, first 2 shown]
	v_add_f32_e32 v61, v24, v69
	v_add_nc_u32_e32 v90, 0x1b20, v45
	v_add_nc_u32_e32 v78, 0x3600, v45
	;; [unrolled: 1-line block ×4, first 2 shown]
	v_sub_f32_e32 v20, v22, v73
	v_sub_f32_e32 v35, v77, v40
	v_add_f32_e32 v40, v62, v68
	v_add_f32_e32 v41, v64, v70
	v_sub_f32_e32 v42, v62, v68
	v_sub_f32_e32 v43, v64, v70
	v_add_f32_e32 v62, v74, v76
	v_sub_f32_e32 v64, v24, v69
	v_sub_f32_e32 v65, v74, v76
	v_add_f32_e32 v22, v75, v98
	v_sub_f32_e32 v24, v75, v98
	v_add_f32_e32 v68, v79, v81
	v_add_f32_e32 v69, v66, v82
	v_sub_f32_e32 v70, v79, v81
	v_sub_f32_e32 v71, v66, v82
	ds_write2_b64 v84, v[0:1], v[16:17] offset1:1
	ds_write2_b64 v89, v[18:19], v[2:3] offset1:1
	;; [unrolled: 1-line block ×3, first 2 shown]
	ds_write2_b64 v45, v[30:31], v[6:7] offset0:2 offset1:3
	ds_write2_b64 v45, v[28:29], v[32:33] offset0:4 offset1:5
	ds_write2_b64 v90, v[34:35], v[20:21] offset1:1
	ds_write2_b64 v78, v[8:9], v[40:41] offset1:1
	ds_write2_b64 v80, v[61:62], v[10:11] offset1:1
	ds_write2_b64 v93, v[42:43], v[64:65] offset1:1
	ds_write2_b64 v94, v[12:13], v[68:69] offset1:1
	ds_write2_b64 v91, v[22:23], v[14:15] offset1:1
	ds_write2_b64 v99, v[70:71], v[24:25] offset1:1
	s_waitcnt lgkmcnt(0)
	s_barrier
	buffer_gl0_inv
	global_load_dwordx4 v[0:3], v101, s[8:9]
	v_add_nc_u32_e32 v45, 0x120, v36
	v_lshlrev_b32_e32 v34, 3, v100
	v_add_nc_u32_e32 v61, 0x1b0, v36
	v_mov_b32_e32 v64, 0xe38f
	v_mul_lo_u16 v65, v60, 57
	v_mul_u32_u24_sdwa v8, v45, v72 dst_sel:DWORD dst_unused:UNUSED_PAD src0_sel:WORD_0 src1_sel:DWORD
	s_clause 0x1
	global_load_dwordx4 v[4:7], v34, s[8:9]
	global_load_dwordx4 v[16:19], v34, s[8:9] offset:16
	v_mul_u32_u24_sdwa v9, v61, v72 dst_sel:DWORD dst_unused:UNUSED_PAD src0_sel:WORD_0 src1_sel:DWORD
	v_mov_b32_e32 v79, 0x120
	v_lshrrev_b32_e32 v69, 18, v8
	v_mul_u32_u24_sdwa v75, v59, v64 dst_sel:DWORD dst_unused:UNUSED_PAD src0_sel:WORD_0 src1_sel:DWORD
	v_lshrrev_b16 v66, 11, v65
	v_lshrrev_b32_e32 v62, 18, v9
	global_load_dwordx4 v[8:11], v101, s[8:9] offset:16
	v_mul_lo_u16 v12, v69, 6
	v_mov_b32_e32 v60, 3
	v_mul_u32_u24_sdwa v80, v45, v64 dst_sel:DWORD dst_unused:UNUSED_PAD src0_sel:WORD_0 src1_sel:DWORD
	v_mul_lo_u16 v13, v62, 6
	v_mul_u32_u24_sdwa v83, v61, v64 dst_sel:DWORD dst_unused:UNUSED_PAD src0_sel:WORD_0 src1_sel:DWORD
	v_sub_nc_u16 v68, v45, v12
	v_lshrrev_b32_e32 v64, 21, v75
	v_mul_u32_u24_sdwa v46, v46, v79 dst_sel:DWORD dst_unused:UNUSED_PAD src0_sel:WORD_0 src1_sel:DWORD
	v_sub_nc_u16 v70, v61, v13
	v_mul_lo_u16 v79, v66, 36
	v_mul_u32_u24_sdwa v12, v68, v44 dst_sel:DWORD dst_unused:UNUSED_PAD src0_sel:WORD_0 src1_sel:DWORD
	v_mul_u32_u24_e32 v47, 0x120, v47
	v_mul_u32_u24_e32 v84, 0x120, v69
	v_mul_u32_u24_sdwa v13, v70, v44 dst_sel:DWORD dst_unused:UNUSED_PAD src0_sel:WORD_0 src1_sel:DWORD
	v_mul_lo_u16 v69, v64, 36
	v_lshlrev_b32_e32 v40, 3, v12
	v_mul_u32_u24_e32 v85, 0x120, v62
	v_sub_nc_u16 v62, v36, v79
	v_lshlrev_b32_e32 v42, 3, v13
	s_clause 0x7
	global_load_dwordx4 v[20:23], v40, s[8:9]
	global_load_dwordx4 v[12:15], v42, s[8:9]
	global_load_dwordx4 v[24:27], v40, s[8:9] offset:16
	global_load_dwordx4 v[28:31], v42, s[8:9] offset:16
	global_load_dwordx2 v[32:33], v101, s[8:9] offset:32
	global_load_dwordx2 v[34:35], v34, s[8:9] offset:32
	;; [unrolled: 1-line block ×4, first 2 shown]
	ds_read2_b64 v[71:74], v37 offset0:64 offset1:208
	ds_read2_b64 v[75:78], v51 offset1:144
	v_lshlrev_b32_sdwa v79, v60, v63 dst_sel:DWORD dst_unused:UNUSED_PAD src0_sel:DWORD src1_sel:BYTE_0
	v_lshlrev_b32_sdwa v67, v60, v67 dst_sel:DWORD dst_unused:UNUSED_PAD src0_sel:DWORD src1_sel:WORD_0
	v_lshrrev_b32_e32 v65, 21, v80
	v_sub_nc_u16 v63, v59, v69
	v_lshlrev_b32_sdwa v86, v60, v68 dst_sel:DWORD dst_unused:UNUSED_PAD src0_sel:DWORD src1_sel:WORD_0
	v_lshlrev_b32_sdwa v87, v60, v70 dst_sel:DWORD dst_unused:UNUSED_PAD src0_sel:DWORD src1_sel:WORD_0
	v_add3_u32 v88, 0, v46, v79
	v_add3_u32 v89, 0, v47, v67
	ds_read2_b64 v[67:70], v49 offset0:64 offset1:208
	ds_read2_b64 v[79:82], v50 offset1:144
	v_mul_u32_u24_sdwa v91, v62, v44 dst_sel:DWORD dst_unused:UNUSED_PAD src0_sel:BYTE_0 src1_sel:DWORD
	v_lshlrev_b32_sdwa v62, v60, v62 dst_sel:DWORD dst_unused:UNUSED_PAD src0_sel:DWORD src1_sel:BYTE_0
	s_waitcnt vmcnt(11) lgkmcnt(3)
	v_mul_f32_e32 v46, v1, v72
	v_mul_f32_e32 v47, v1, v71
	s_waitcnt lgkmcnt(2)
	v_mul_f32_e32 v90, v3, v75
	v_mul_f32_e32 v1, v3, v76
	v_fma_f32 v46, v0, v71, -v46
	v_fmac_f32_e32 v47, v0, v72
	v_fmac_f32_e32 v90, v2, v76
	s_waitcnt vmcnt(10)
	v_mul_f32_e32 v0, v74, v5
	v_mul_f32_e32 v72, v73, v5
	;; [unrolled: 1-line block ×4, first 2 shown]
	v_fma_f32 v71, v2, v75, -v1
	v_add3_u32 v75, 0, v84, v86
	v_fmac_f32_e32 v72, v74, v4
	v_fma_f32 v74, v77, v6, -v5
	v_fmac_f32_e32 v76, v78, v6
	s_waitcnt vmcnt(8) lgkmcnt(1)
	v_mul_f32_e32 v77, v68, v9
	v_mul_f32_e32 v78, v67, v9
	s_waitcnt lgkmcnt(0)
	v_mul_f32_e32 v84, v79, v11
	v_fma_f32 v73, v73, v4, -v0
	ds_read2_b64 v[0:3], v53 offset0:96 offset1:240
	ds_read2_b64 v[4:7], v55 offset0:32 offset1:176
	v_mul_f32_e32 v9, v80, v11
	v_fma_f32 v67, v67, v8, -v77
	v_fmac_f32_e32 v78, v68, v8
	v_fmac_f32_e32 v84, v80, v10
	v_mul_f32_e32 v8, v70, v17
	v_mul_f32_e32 v77, v69, v17
	;; [unrolled: 1-line block ×4, first 2 shown]
	v_fma_f32 v68, v79, v10, -v9
	v_fma_f32 v69, v69, v16, -v8
	v_fmac_f32_e32 v77, v70, v16
	v_fma_f32 v70, v81, v18, -v17
	v_fmac_f32_e32 v80, v82, v18
	ds_read2_b64 v[16:19], v57 offset0:32 offset1:176
	ds_read2_b64 v[8:11], v56 offset0:96 offset1:240
	v_add3_u32 v79, 0, v85, v87
	v_mul_u32_u24_sdwa v86, v63, v44 dst_sel:DWORD dst_unused:UNUSED_PAD src0_sel:WORD_0 src1_sel:DWORD
	v_lshlrev_b32_sdwa v63, v60, v63 dst_sel:DWORD dst_unused:UNUSED_PAD src0_sel:DWORD src1_sel:WORD_0
	s_waitcnt vmcnt(7) lgkmcnt(3)
	v_mul_f32_e32 v81, v1, v21
	v_mul_f32_e32 v21, v0, v21
	s_waitcnt lgkmcnt(2)
	v_mul_f32_e32 v82, v5, v23
	v_mul_f32_e32 v23, v4, v23
	s_waitcnt vmcnt(6)
	v_mul_f32_e32 v85, v3, v13
	v_fma_f32 v81, v0, v20, -v81
	v_fmac_f32_e32 v21, v1, v20
	v_fma_f32 v20, v4, v22, -v82
	v_fmac_f32_e32 v23, v5, v22
	v_mul_f32_e32 v22, v2, v13
	v_mul_f32_e32 v4, v7, v15
	;; [unrolled: 1-line block ×3, first 2 shown]
	v_fma_f32 v85, v2, v12, -v85
	v_lshlrev_b32_e32 v82, 3, v91
	v_fmac_f32_e32 v22, v3, v12
	s_waitcnt vmcnt(5) lgkmcnt(1)
	v_mul_f32_e32 v13, v17, v27
	v_mul_f32_e32 v27, v16, v27
	ds_read2_b64 v[0:3], v54 offset0:64 offset1:208
	v_fma_f32 v91, v6, v14, -v4
	v_fmac_f32_e32 v87, v7, v14
	s_waitcnt lgkmcnt(1)
	v_mul_f32_e32 v12, v9, v25
	v_mul_f32_e32 v25, v8, v25
	s_waitcnt vmcnt(4)
	v_mul_f32_e32 v14, v11, v29
	v_fmac_f32_e32 v27, v17, v26
	v_mul_f32_e32 v17, v10, v29
	ds_read2_b64 v[4:7], v58 offset0:96 offset1:240
	v_fma_f32 v92, v8, v24, -v12
	v_fmac_f32_e32 v25, v9, v24
	v_fma_f32 v16, v16, v26, -v13
	v_fma_f32 v26, v10, v28, -v14
	v_fmac_f32_e32 v17, v11, v28
	ds_read2_b64 v[8:11], v48 offset1:144
	v_mul_f32_e32 v12, v19, v31
	v_mul_f32_e32 v24, v18, v31
	v_lshlrev_b32_e32 v86, 3, v86
	v_fma_f32 v18, v18, v30, -v12
	ds_read2_b64 v[12:15], v52 offset0:32 offset1:176
	v_fmac_f32_e32 v24, v19, v30
	s_waitcnt vmcnt(3) lgkmcnt(3)
	v_mul_f32_e32 v19, v1, v33
	v_mul_f32_e32 v28, v0, v33
	s_waitcnt vmcnt(2)
	v_mul_f32_e32 v29, v3, v35
	v_mul_f32_e32 v30, v2, v35
	v_add_f32_e32 v35, v46, v67
	v_fma_f32 v0, v0, v32, -v19
	v_fmac_f32_e32 v28, v1, v32
	s_waitcnt vmcnt(1) lgkmcnt(2)
	v_mul_f32_e32 v1, v4, v41
	s_waitcnt vmcnt(0)
	v_mul_f32_e32 v19, v7, v43
	v_mul_f32_e32 v31, v5, v41
	v_fma_f32 v2, v2, v34, -v29
	v_fmac_f32_e32 v30, v3, v34
	v_mul_f32_e32 v3, v6, v43
	s_waitcnt lgkmcnt(1)
	v_add_f32_e32 v29, v9, v90
	v_fmac_f32_e32 v1, v5, v40
	v_fma_f32 v5, v6, v42, -v19
	v_add_f32_e32 v6, v8, v71
	v_fma_f32 v4, v4, v40, -v31
	v_fmac_f32_e32 v3, v7, v42
	v_sub_f32_e32 v31, v90, v84
	v_add_f32_e32 v32, v90, v84
	v_add_f32_e32 v33, v78, v28
	v_add_f32_e32 v90, v69, v2
	v_add_f32_e32 v29, v29, v84
	v_add_f32_e32 v84, v11, v76
	v_add_f32_e32 v34, v47, v78
	v_add_f32_e32 v7, v71, v68
	v_sub_f32_e32 v19, v71, v68
	v_add_f32_e32 v6, v6, v68
	v_add_f32_e32 v68, v73, v69
	;; [unrolled: 1-line block ×3, first 2 shown]
	v_sub_f32_e32 v41, v67, v0
	v_sub_f32_e32 v42, v78, v28
	v_add_f32_e32 v43, v77, v30
	v_sub_f32_e32 v67, v74, v70
	v_add_f32_e32 v71, v76, v80
	v_add_f32_e32 v78, v72, v77
	v_fmac_f32_e32 v47, -0.5, v33
	v_add_f32_e32 v33, v74, v70
	v_add_f32_e32 v74, v10, v74
	v_fmac_f32_e32 v73, -0.5, v90
	v_add_f32_e32 v90, v17, v3
	v_sub_f32_e32 v76, v76, v80
	v_add_f32_e32 v80, v84, v80
	s_waitcnt lgkmcnt(0)
	v_add_f32_e32 v84, v12, v20
	v_add_f32_e32 v28, v34, v28
	;; [unrolled: 1-line block ×3, first 2 shown]
	v_sub_f32_e32 v69, v69, v2
	v_add_f32_e32 v35, v35, v0
	v_add_f32_e32 v0, v87, v24
	;; [unrolled: 1-line block ×4, first 2 shown]
	v_sub_f32_e32 v77, v77, v30
	v_fmac_f32_e32 v46, -0.5, v40
	v_fmac_f32_e32 v72, -0.5, v43
	v_add_f32_e32 v43, v85, v26
	v_fmac_f32_e32 v11, -0.5, v71
	v_add_f32_e32 v71, v22, v17
	;; [unrolled: 2-line block ×3, first 2 shown]
	v_add_f32_e32 v70, v74, v70
	v_add_f32_e32 v74, v23, v27
	v_sub_f32_e32 v20, v20, v16
	v_add_f32_e32 v30, v78, v30
	v_add_f32_e32 v78, v81, v92
	;; [unrolled: 1-line block ×5, first 2 shown]
	v_fmac_f32_e32 v85, -0.5, v34
	v_add_f32_e32 v34, v91, v18
	v_fmac_f32_e32 v15, -0.5, v0
	v_add_f32_e32 v0, v14, v91
	v_sub_f32_e32 v23, v23, v27
	v_add_f32_e32 v27, v2, v27
	v_add_f32_e32 v2, v21, v25
	v_sub_f32_e32 v93, v91, v18
	v_sub_f32_e32 v91, v92, v4
	v_add_f32_e32 v78, v78, v4
	v_add_f32_e32 v4, v25, v1
	v_sub_f32_e32 v25, v25, v1
	v_fma_f32 v10, -0.5, v33, v10
	v_fma_f32 v74, -0.5, v74, v13
	v_fmac_f32_e32 v81, -0.5, v84
	v_add_f32_e32 v33, v43, v5
	v_fmamk_f32 v43, v42, 0x3f5db3d7, v46
	v_sub_f32_e32 v17, v17, v3
	v_sub_f32_e32 v87, v87, v24
	v_fma_f32 v92, -0.5, v7, v8
	v_fma_f32 v32, -0.5, v32, v9
	;; [unrolled: 1-line block ×3, first 2 shown]
	v_add_f32_e32 v24, v40, v24
	v_add_f32_e32 v34, v71, v3
	v_fmamk_f32 v40, v41, 0xbf5db3d7, v47
	v_sub_f32_e32 v26, v26, v5
	v_add_f32_e32 v13, v2, v1
	v_add_f32_e32 v18, v0, v18
	;; [unrolled: 1-line block ×3, first 2 shown]
	v_sub_f32_e32 v3, v29, v28
	v_fmac_f32_e32 v47, 0x3f5db3d7, v41
	v_fmamk_f32 v28, v69, 0xbf5db3d7, v72
	v_fmac_f32_e32 v72, 0x3f5db3d7, v69
	v_fma_f32 v90, -0.5, v90, v12
	v_fmac_f32_e32 v21, -0.5, v4
	v_add_f32_e32 v0, v6, v35
	v_sub_f32_e32 v2, v6, v35
	v_fmac_f32_e32 v46, 0xbf5db3d7, v42
	v_fmamk_f32 v29, v77, 0x3f5db3d7, v73
	v_fmac_f32_e32 v73, 0xbf5db3d7, v77
	v_fmamk_f32 v35, v67, 0xbf5db3d7, v11
	;; [unrolled: 2-line block ×4, first 2 shown]
	v_fmac_f32_e32 v81, 0xbf5db3d7, v25
	v_mul_f32_e32 v25, 0xbf5db3d7, v43
	v_fmamk_f32 v71, v31, 0x3f5db3d7, v92
	v_fmamk_f32 v84, v19, 0xbf5db3d7, v32
	v_fmac_f32_e32 v92, 0xbf5db3d7, v31
	v_fmac_f32_e32 v32, 0x3f5db3d7, v19
	v_fmamk_f32 v31, v17, 0x3f5db3d7, v85
	v_fmac_f32_e32 v85, 0xbf5db3d7, v17
	v_add_f32_e32 v17, v24, v34
	v_sub_f32_e32 v19, v24, v34
	v_mul_f32_e32 v24, 0x3f5db3d7, v40
	v_fmamk_f32 v41, v26, 0xbf5db3d7, v22
	v_add_f32_e32 v8, v16, v78
	v_add_f32_e32 v9, v27, v13
	v_sub_f32_e32 v12, v16, v78
	v_sub_f32_e32 v13, v27, v13
	v_add_f32_e32 v16, v18, v33
	v_sub_f32_e32 v18, v18, v33
	v_mul_f32_e32 v27, -0.5, v47
	v_mul_f32_e32 v33, -0.5, v72
	v_fmac_f32_e32 v22, 0x3f5db3d7, v26
	v_fmamk_f32 v42, v23, 0x3f5db3d7, v90
	v_fmac_f32_e32 v90, 0xbf5db3d7, v23
	v_fmamk_f32 v23, v91, 0xbf5db3d7, v21
	v_fmac_f32_e32 v21, 0x3f5db3d7, v91
	v_mul_f32_e32 v26, -0.5, v46
	v_fmac_f32_e32 v25, 0.5, v40
	v_mul_f32_e32 v40, -0.5, v73
	v_add_f32_e32 v4, v70, v68
	v_sub_f32_e32 v6, v70, v68
	v_mul_f32_e32 v68, 0x3f5db3d7, v28
	v_fmac_f32_e32 v24, 0.5, v43
	v_mul_f32_e32 v43, 0xbf5db3d7, v29
	v_fmac_f32_e32 v27, 0xbf5db3d7, v46
	v_mul_f32_e32 v69, -0.5, v81
	v_fmac_f32_e32 v33, 0xbf5db3d7, v73
	v_mul_f32_e32 v46, 0xbf5db3d7, v20
	v_mul_f32_e32 v73, 0x3f5db3d7, v41
	v_mul_f32_e32 v34, -0.5, v22
	v_fmac_f32_e32 v26, 0x3f5db3d7, v47
	v_mul_f32_e32 v47, 0x3f5db3d7, v23
	v_mul_f32_e32 v70, -0.5, v21
	v_mul_f32_e32 v78, -0.5, v85
	v_fmac_f32_e32 v40, 0x3f5db3d7, v72
	v_mul_f32_e32 v72, 0xbf5db3d7, v31
	v_add_f32_e32 v5, v80, v30
	v_sub_f32_e32 v7, v80, v30
	v_fmamk_f32 v30, v76, 0x3f5db3d7, v10
	v_fmac_f32_e32 v68, 0.5, v29
	v_fmac_f32_e32 v43, 0.5, v28
	v_fmac_f32_e32 v10, 0xbf5db3d7, v76
	v_fmamk_f32 v76, v87, 0x3f5db3d7, v14
	v_fmac_f32_e32 v69, 0x3f5db3d7, v21
	v_fmac_f32_e32 v46, 0.5, v23
	v_fmac_f32_e32 v73, 0.5, v31
	v_fmamk_f32 v77, v93, 0xbf5db3d7, v15
	v_fmac_f32_e32 v15, 0x3f5db3d7, v93
	v_fmac_f32_e32 v14, 0xbf5db3d7, v87
	;; [unrolled: 1-line block ×3, first 2 shown]
	v_fmac_f32_e32 v47, 0.5, v20
	v_fmac_f32_e32 v70, 0xbf5db3d7, v81
	v_fmac_f32_e32 v78, 0x3f5db3d7, v22
	v_fmac_f32_e32 v72, 0.5, v41
	v_add_f32_e32 v20, v71, v24
	v_add_f32_e32 v21, v84, v25
	;; [unrolled: 1-line block ×4, first 2 shown]
	v_sub_f32_e32 v24, v71, v24
	v_sub_f32_e32 v25, v84, v25
	;; [unrolled: 1-line block ×4, first 2 shown]
	v_add_f32_e32 v29, v11, v33
	v_sub_f32_e32 v11, v11, v33
	v_add_f32_e32 v32, v30, v68
	v_add_f32_e32 v33, v35, v43
	;; [unrolled: 1-line block ×3, first 2 shown]
	v_sub_f32_e32 v35, v35, v43
	v_add_f32_e32 v41, v67, v46
	v_sub_f32_e32 v43, v67, v46
	v_add_f32_e32 v46, v90, v69
	;; [unrolled: 2-line block ×3, first 2 shown]
	s_barrier
	buffer_gl0_inv
	v_add_f32_e32 v31, v15, v34
	v_sub_f32_e32 v15, v15, v34
	v_sub_f32_e32 v10, v10, v40
	;; [unrolled: 1-line block ×3, first 2 shown]
	v_add_f32_e32 v40, v42, v47
	v_sub_f32_e32 v42, v42, v47
	v_add_f32_e32 v47, v74, v70
	v_sub_f32_e32 v68, v74, v70
	;; [unrolled: 2-line block ×4, first 2 shown]
	v_sub_f32_e32 v72, v77, v72
	ds_write2_b64 v88, v[0:1], v[20:21] offset1:6
	ds_write2_b64 v88, v[22:23], v[2:3] offset0:12 offset1:18
	ds_write2_b64 v88, v[24:25], v[26:27] offset0:24 offset1:30
	ds_write2_b64 v89, v[4:5], v[32:33] offset1:6
	ds_write2_b64 v89, v[28:29], v[6:7] offset0:12 offset1:18
	ds_write2_b64 v89, v[34:35], v[10:11] offset0:24 offset1:30
	;; [unrolled: 3-line block ×4, first 2 shown]
	v_lshrrev_b32_e32 v69, 21, v83
	v_mul_lo_u16 v0, v65, 36
	s_waitcnt lgkmcnt(0)
	s_barrier
	buffer_gl0_inv
	v_mul_lo_u16 v1, v69, 36
	s_clause 0x1
	global_load_dwordx4 v[28:31], v82, s[8:9] offset:240
	global_load_dwordx4 v[4:7], v86, s[8:9] offset:240
	v_sub_nc_u16 v67, v45, v0
	v_add_nc_u32_e32 v70, 0xffffffb8, v36
	v_sub_nc_u16 v68, v61, v1
	v_add_nc_u32_e32 v73, 0x4c00, v48
	v_add_nc_u32_e32 v72, 0x5400, v48
	v_mul_u32_u24_sdwa v0, v67, v44 dst_sel:DWORD dst_unused:UNUSED_PAD src0_sel:WORD_0 src1_sel:DWORD
	v_cndmask_b32_e64 v70, v70, v59, s0
	v_mul_u32_u24_sdwa v1, v68, v44 dst_sel:DWORD dst_unused:UNUSED_PAD src0_sel:WORD_0 src1_sel:DWORD
	v_mov_b32_e32 v74, 0x6c0
	v_add_nc_u32_e32 v71, 0x5c00, v48
	v_lshlrev_b32_e32 v32, 3, v0
	v_lshlrev_b32_e32 v33, 3, v1
	s_clause 0x9
	global_load_dwordx4 v[12:15], v32, s[8:9] offset:240
	global_load_dwordx4 v[0:3], v33, s[8:9] offset:240
	;; [unrolled: 1-line block ×6, first 2 shown]
	global_load_dwordx2 v[42:43], v82, s[8:9] offset:272
	global_load_dwordx2 v[40:41], v86, s[8:9] offset:272
	;; [unrolled: 1-line block ×4, first 2 shown]
	ds_read2_b64 v[76:79], v37 offset0:64 offset1:208
	ds_read2_b64 v[32:35], v51 offset1:144
	ds_read2_b64 v[80:83], v53 offset0:96 offset1:240
	ds_read2_b64 v[84:87], v55 offset0:32 offset1:176
	v_mul_u32_u24_sdwa v66, v66, v74 dst_sel:DWORD dst_unused:UNUSED_PAD src0_sel:WORD_0 src1_sel:DWORD
	v_add3_u32 v93, 0, v66, v62
	s_waitcnt vmcnt(11) lgkmcnt(3)
	v_mul_f32_e32 v88, v29, v77
	v_mul_f32_e32 v75, v29, v76
	s_waitcnt lgkmcnt(2)
	v_mul_f32_e32 v29, v31, v33
	v_mul_f32_e32 v89, v31, v32
	s_waitcnt vmcnt(10)
	v_mul_f32_e32 v90, v79, v5
	v_mul_f32_e32 v5, v78, v5
	v_fma_f32 v31, v28, v76, -v88
	v_fmac_f32_e32 v75, v28, v77
	v_fma_f32 v76, v30, v32, -v29
	v_fmac_f32_e32 v89, v30, v33
	v_mul_u32_u24_e32 v28, 3, v36
	v_fma_f32 v30, v78, v4, -v90
	v_fmac_f32_e32 v5, v79, v4
	v_mul_f32_e32 v4, v35, v7
	v_mul_f32_e32 v88, v34, v7
	v_lshlrev_b32_e32 v90, 3, v28
	s_waitcnt vmcnt(9) lgkmcnt(1)
	v_mul_f32_e32 v28, v81, v13
	s_waitcnt vmcnt(8)
	v_mul_f32_e32 v91, v82, v1
	v_fma_f32 v4, v34, v6, -v4
	v_fmac_f32_e32 v88, v35, v6
	ds_read2_b32 v[6:7], v50 offset1:1
	v_mul_f32_e32 v34, v80, v13
	s_waitcnt lgkmcnt(1)
	v_mul_f32_e32 v13, v85, v15
	v_mul_f32_e32 v35, v84, v15
	v_mul_f32_e32 v15, v83, v1
	v_fma_f32 v80, v80, v12, -v28
	v_fmac_f32_e32 v34, v81, v12
	v_fma_f32 v81, v84, v14, -v13
	v_fmac_f32_e32 v35, v85, v14
	v_fma_f32 v82, v82, v0, -v15
	ds_read2_b64 v[12:15], v49 offset0:64 offset1:208
	v_mov_b32_e32 v29, 0
	v_mov_b32_e32 v77, 0x12f7
	v_lshrrev_b16 v1, 3, v61
	v_mul_i32_i24_e32 v28, 3, v70
	v_fmac_f32_e32 v91, v83, v0
	v_mul_f32_e32 v0, v87, v3
	v_mul_f32_e32 v83, v86, v3
	v_mul_u32_u24_sdwa v3, v1, v77 dst_sel:DWORD dst_unused:UNUSED_PAD src0_sel:WORD_0 src1_sel:DWORD
	v_add_nc_u16 v78, v36, 0x240
	v_add_nc_u16 v79, v36, 0x2d0
	v_fma_f32 v85, v86, v2, -v0
	v_lshlrev_b64 v[0:1], 3, v[28:29]
	s_waitcnt vmcnt(7) lgkmcnt(1)
	v_mul_f32_e32 v86, v7, v11
	v_fmac_f32_e32 v83, v87, v2
	v_mul_u32_u24_e32 v28, 0x6c0, v64
	v_mul_u32_u24_e32 v64, 0x6c0, v65
	;; [unrolled: 1-line block ×3, first 2 shown]
	v_add_co_u32 v32, s0, s8, v0
	v_lshrrev_b32_e32 v69, 17, v3
	v_mul_f32_e32 v87, v11, v6
	v_add_co_ci_u32_e64 v33, s0, s9, v1, s0
	ds_read2_b64 v[0:3], v73 offset0:16 offset1:160
	s_waitcnt lgkmcnt(1)
	v_mul_f32_e32 v11, v9, v13
	v_fma_f32 v73, v10, v6, -v86
	v_mul_f32_e32 v86, v9, v12
	v_fmac_f32_e32 v87, v7, v10
	v_mul_lo_u16 v10, 0xd8, v69
	v_fma_f32 v69, v8, v12, -v11
	v_lshlrev_b32_sdwa v11, v60, v67 dst_sel:DWORD dst_unused:UNUSED_PAD src0_sel:DWORD src1_sel:WORD_0
	v_fmac_f32_e32 v86, v8, v13
	ds_read2_b64 v[6:9], v56 offset0:96 offset1:240
	v_sub_nc_u16 v92, v61, v10
	s_waitcnt vmcnt(6)
	v_mul_f32_e32 v61, v15, v17
	v_add3_u32 v94, 0, v64, v11
	ds_read2_b64 v[10:13], v72 offset0:48 offset1:192
	v_mul_f32_e32 v62, v14, v17
	v_add3_u32 v28, 0, v28, v63
	v_fma_f32 v61, v14, v16, -v61
	v_lshlrev_b32_sdwa v67, v60, v68 dst_sel:DWORD dst_unused:UNUSED_PAD src0_sel:DWORD src1_sel:WORD_0
	v_lshrrev_b16 v84, 3, v78
	v_fmac_f32_e32 v62, v15, v16
	s_waitcnt lgkmcnt(2)
	v_mul_f32_e32 v14, v1, v19
	v_mul_f32_e32 v63, v0, v19
	s_waitcnt vmcnt(5)
	v_mul_f32_e32 v19, v3, v23
	v_mul_f32_e32 v23, v2, v23
	v_add3_u32 v72, 0, v65, v67
	v_fma_f32 v64, v0, v18, -v14
	v_fmac_f32_e32 v63, v1, v18
	ds_read2_b64 v[14:17], v71 offset0:80 offset1:224
	v_fma_f32 v65, v2, v22, -v19
	s_waitcnt lgkmcnt(2)
	v_mul_f32_e32 v0, v7, v21
	v_mul_f32_e32 v21, v6, v21
	s_waitcnt vmcnt(4)
	v_mul_f32_e32 v1, v9, v25
	v_fmac_f32_e32 v23, v3, v22
	ds_read_b64 v[18:19], v48 offset:26496
	v_mul_f32_e32 v22, v8, v25
	v_fma_f32 v25, v6, v20, -v0
	v_fmac_f32_e32 v21, v7, v20
	s_waitcnt lgkmcnt(2)
	v_mul_f32_e32 v6, v11, v27
	v_mul_f32_e32 v20, v10, v27
	v_fma_f32 v27, v8, v24, -v1
	ds_read2_b64 v[0:3], v48 offset1:144
	v_fmac_f32_e32 v22, v9, v24
	v_fma_f32 v10, v10, v26, -v6
	v_fmac_f32_e32 v20, v11, v26
	ds_read2_b64 v[6:9], v52 offset0:32 offset1:176
	s_waitcnt vmcnt(3)
	v_mul_f32_e32 v11, v13, v43
	v_mul_f32_e32 v24, v12, v43
	s_waitcnt vmcnt(1) lgkmcnt(3)
	v_mul_f32_e32 v26, v17, v45
	v_add_f32_e32 v71, v5, v62
	v_add_f32_e32 v67, v88, v63
	v_fma_f32 v11, v12, v42, -v11
	v_mul_f32_e32 v12, v15, v41
	v_fmac_f32_e32 v24, v13, v42
	v_mul_f32_e32 v13, v14, v41
	v_mul_f32_e32 v41, v16, v45
	s_waitcnt vmcnt(0) lgkmcnt(2)
	v_mul_f32_e32 v42, v19, v47
	v_mul_f32_e32 v43, v18, v47
	v_fma_f32 v12, v14, v40, -v12
	v_fma_f32 v14, v16, v44, -v26
	v_fmac_f32_e32 v13, v15, v40
	s_waitcnt lgkmcnt(1)
	v_add_f32_e32 v16, v0, v76
	v_fmac_f32_e32 v41, v17, v44
	v_fma_f32 v15, v18, v46, -v42
	v_fmac_f32_e32 v43, v19, v46
	v_add_f32_e32 v17, v76, v73
	v_sub_f32_e32 v18, v76, v73
	v_add_f32_e32 v46, v69, v11
	v_add_f32_e32 v16, v16, v73
	;; [unrolled: 1-line block ×8, first 2 shown]
	v_sub_f32_e32 v61, v61, v12
	v_fmac_f32_e32 v31, -0.5, v46
	v_add_f32_e32 v46, v83, v20
	v_fmac_f32_e32 v30, -0.5, v73
	v_add_f32_e32 v73, v22, v43
	v_add_f32_e32 v12, v76, v12
	s_waitcnt lgkmcnt(0)
	v_add_f32_e32 v76, v6, v81
	v_add_f32_e32 v19, v1, v89
	v_sub_f32_e32 v47, v69, v11
	v_sub_f32_e32 v66, v86, v24
	v_add_f32_e32 v69, v62, v13
	v_fmac_f32_e32 v75, -0.5, v42
	v_sub_f32_e32 v42, v4, v64
	v_sub_f32_e32 v62, v62, v13
	v_add_f32_e32 v11, v45, v11
	v_add_f32_e32 v45, v4, v64
	;; [unrolled: 1-line block ×5, first 2 shown]
	v_fmac_f32_e32 v9, -0.5, v46
	v_add_f32_e32 v46, v91, v22
	v_fmac_f32_e32 v91, -0.5, v73
	v_add_f32_e32 v73, v81, v65
	v_add_f32_e32 v13, v71, v13
	;; [unrolled: 1-line block ×3, first 2 shown]
	v_sub_f32_e32 v86, v88, v63
	v_add_f32_e32 v63, v68, v63
	v_add_f32_e32 v68, v80, v25
	v_sub_f32_e32 v81, v81, v65
	v_add_f32_e32 v65, v76, v65
	v_add_f32_e32 v76, v34, v21
	v_fmac_f32_e32 v3, -0.5, v67
	v_add_f32_e32 v67, v27, v15
	v_sub_f32_e32 v26, v89, v87
	v_add_f32_e32 v40, v89, v87
	v_add_f32_e32 v19, v19, v87
	v_fmac_f32_e32 v5, -0.5, v69
	v_add_f32_e32 v69, v82, v27
	v_add_f32_e32 v4, v4, v64
	;; [unrolled: 1-line block ×3, first 2 shown]
	v_sub_f32_e32 v35, v35, v23
	v_add_f32_e32 v23, v71, v23
	v_add_f32_e32 v71, v25, v14
	v_sub_f32_e32 v25, v25, v14
	v_add_f32_e32 v68, v68, v14
	v_add_f32_e32 v14, v21, v41
	;; [unrolled: 3-line block ×3, first 2 shown]
	v_fmac_f32_e32 v82, -0.5, v67
	v_sub_f32_e32 v22, v22, v43
	v_sub_f32_e32 v27, v27, v15
	;; [unrolled: 1-line block ×3, first 2 shown]
	v_add_f32_e32 v76, v85, v10
	v_fma_f32 v85, -0.5, v17, v0
	v_fma_f32 v40, -0.5, v40, v1
	;; [unrolled: 1-line block ×3, first 2 shown]
	v_add_f32_e32 v41, v41, v10
	v_add_f32_e32 v45, v69, v15
	v_fmamk_f32 v69, v66, 0x3f5db3d7, v31
	v_fma_f32 v73, -0.5, v73, v6
	v_add_f32_e32 v43, v46, v43
	v_add_f32_e32 v44, v44, v20
	v_fmac_f32_e32 v34, -0.5, v14
	v_fmac_f32_e32 v80, -0.5, v71
	v_fmamk_f32 v46, v47, 0xbf5db3d7, v75
	v_fmac_f32_e32 v31, 0xbf5db3d7, v66
	v_fmac_f32_e32 v75, 0x3f5db3d7, v47
	v_fmamk_f32 v47, v22, 0x3f5db3d7, v82
	v_fmac_f32_e32 v82, 0xbf5db3d7, v22
	v_fmamk_f32 v22, v27, 0xbf5db3d7, v91
	v_fmac_f32_e32 v91, 0x3f5db3d7, v27
	v_sub_f32_e32 v83, v83, v20
	v_fma_f32 v64, -0.5, v64, v7
	v_fma_f32 v8, -0.5, v76, v8
	v_add_f32_e32 v1, v19, v24
	v_fmamk_f32 v71, v26, 0x3f5db3d7, v85
	v_fmamk_f32 v76, v18, 0xbf5db3d7, v40
	v_sub_f32_e32 v7, v19, v24
	v_fmac_f32_e32 v85, 0xbf5db3d7, v26
	v_fmac_f32_e32 v40, 0x3f5db3d7, v18
	v_fmamk_f32 v24, v61, 0xbf5db3d7, v5
	v_fmamk_f32 v26, v42, 0xbf5db3d7, v3
	v_fmac_f32_e32 v3, 0x3f5db3d7, v42
	v_fmamk_f32 v42, v62, 0x3f5db3d7, v30
	v_add_f32_e32 v18, v41, v45
	v_sub_f32_e32 v20, v41, v45
	v_mul_f32_e32 v41, 0xbf5db3d7, v69
	v_fmac_f32_e32 v5, 0x3f5db3d7, v61
	v_fmac_f32_e32 v30, 0xbf5db3d7, v62
	v_add_f32_e32 v0, v16, v11
	v_sub_f32_e32 v6, v16, v11
	v_add_f32_e32 v10, v4, v12
	v_add_f32_e32 v11, v63, v13
	v_sub_f32_e32 v12, v4, v12
	v_sub_f32_e32 v13, v63, v13
	v_add_f32_e32 v15, v23, v21
	v_sub_f32_e32 v17, v23, v21
	v_add_f32_e32 v19, v44, v43
	v_sub_f32_e32 v21, v44, v43
	v_fmamk_f32 v4, v25, 0xbf5db3d7, v34
	v_fmamk_f32 v23, v87, 0x3f5db3d7, v80
	;; [unrolled: 1-line block ×3, first 2 shown]
	v_fmac_f32_e32 v80, 0xbf5db3d7, v87
	v_fmac_f32_e32 v73, 0xbf5db3d7, v35
	;; [unrolled: 1-line block ×3, first 2 shown]
	v_mul_f32_e32 v35, 0x3f5db3d7, v46
	v_mul_f32_e32 v44, -0.5, v31
	v_mul_f32_e32 v63, -0.5, v91
	;; [unrolled: 1-line block ×3, first 2 shown]
	v_fmac_f32_e32 v41, 0.5, v46
	v_mul_f32_e32 v46, 0x3f5db3d7, v24
	v_mul_f32_e32 v66, 0xbf5db3d7, v42
	v_add_f32_e32 v14, v65, v68
	v_sub_f32_e32 v16, v65, v68
	v_mul_f32_e32 v27, -0.5, v5
	v_mul_f32_e32 v65, -0.5, v30
	v_fmamk_f32 v88, v67, 0xbf5db3d7, v9
	v_fmac_f32_e32 v9, 0x3f5db3d7, v67
	v_fmamk_f32 v43, v86, 0x3f5db3d7, v2
	v_fmac_f32_e32 v2, 0xbf5db3d7, v86
	;; [unrolled: 2-line block ×4, first 2 shown]
	v_fmac_f32_e32 v35, 0.5, v69
	v_fmac_f32_e32 v44, 0x3f5db3d7, v75
	v_mul_f32_e32 v68, 0x3f5db3d7, v4
	v_mul_f32_e32 v69, 0xbf5db3d7, v23
	v_mul_f32_e32 v75, -0.5, v80
	v_mul_f32_e32 v81, -0.5, v34
	v_fmac_f32_e32 v63, 0xbf5db3d7, v82
	v_mul_f32_e32 v82, -0.5, v82
	v_mul_f32_e32 v83, 0x3f5db3d7, v22
	v_mul_f32_e32 v86, 0xbf5db3d7, v47
	v_fmac_f32_e32 v45, 0xbf5db3d7, v31
	v_fmac_f32_e32 v46, 0.5, v42
	v_fmac_f32_e32 v66, 0.5, v24
	v_fmac_f32_e32 v27, 0xbf5db3d7, v30
	v_fmac_f32_e32 v65, 0x3f5db3d7, v5
	v_fmac_f32_e32 v68, 0.5, v23
	v_fmac_f32_e32 v69, 0.5, v4
	v_fmac_f32_e32 v75, 0x3f5db3d7, v34
	v_fmac_f32_e32 v81, 0xbf5db3d7, v80
	;; [unrolled: 1-line block ×3, first 2 shown]
	v_fmac_f32_e32 v83, 0.5, v47
	v_fmac_f32_e32 v86, 0.5, v22
	v_add_f32_e32 v4, v71, v35
	v_add_f32_e32 v5, v76, v41
	;; [unrolled: 1-line block ×4, first 2 shown]
	v_sub_f32_e32 v30, v71, v35
	v_sub_f32_e32 v31, v76, v41
	;; [unrolled: 1-line block ×4, first 2 shown]
	v_add_f32_e32 v40, v43, v46
	v_add_f32_e32 v41, v26, v66
	;; [unrolled: 1-line block ×4, first 2 shown]
	s_barrier
	buffer_gl0_inv
	v_sub_f32_e32 v3, v3, v27
	v_add_f32_e32 v27, v9, v63
	v_sub_f32_e32 v9, v9, v63
	v_sub_f32_e32 v2, v2, v65
	;; [unrolled: 1-line block ×4, first 2 shown]
	v_add_f32_e32 v44, v61, v68
	v_add_f32_e32 v45, v62, v69
	v_sub_f32_e32 v46, v61, v68
	v_sub_f32_e32 v47, v62, v69
	v_add_f32_e32 v61, v73, v75
	v_add_f32_e32 v62, v64, v81
	v_sub_f32_e32 v63, v73, v75
	v_sub_f32_e32 v64, v64, v81
	v_add_f32_e32 v26, v8, v82
	v_sub_f32_e32 v8, v8, v82
	v_add_f32_e32 v65, v67, v83
	v_add_f32_e32 v66, v88, v86
	v_sub_f32_e32 v67, v67, v83
	v_sub_f32_e32 v68, v88, v86
	ds_write2_b64 v93, v[0:1], v[4:5] offset1:36
	ds_write2_b64 v93, v[22:23], v[6:7] offset0:72 offset1:108
	ds_write2_b64 v93, v[30:31], v[34:35] offset0:144 offset1:180
	ds_write2_b64 v28, v[10:11], v[40:41] offset1:36
	ds_write2_b64 v28, v[24:25], v[12:13] offset0:72 offset1:108
	ds_write2_b64 v28, v[42:43], v[2:3] offset0:144 offset1:180
	;; [unrolled: 3-line block ×4, first 2 shown]
	s_waitcnt lgkmcnt(0)
	s_barrier
	buffer_gl0_inv
	global_load_dwordx4 v[20:23], v90, s[8:9] offset:1680
	v_mul_u32_u24_sdwa v0, v84, v77 dst_sel:DWORD dst_unused:UNUSED_PAD src0_sel:WORD_0 src1_sel:DWORD
	v_lshrrev_b16 v74, 3, v79
	v_add_co_u32 v28, s0, s8, v90
	v_and_b32_e32 v47, 0xffff, v92
	global_load_dwordx4 v[12:15], v[32:33], off offset:1680
	v_lshrrev_b32_e32 v65, 17, v0
	v_add_co_ci_u32_e64 v42, null, s9, 0, s0
	v_mul_u32_u24_sdwa v2, v74, v77 dst_sel:DWORD dst_unused:UNUSED_PAD src0_sel:WORD_0 src1_sel:DWORD
	v_add_co_u32 v0, s0, 0x800, v28
	v_mul_u32_u24_e32 v3, 3, v47
	v_mul_lo_u16 v4, 0xd8, v65
	v_add_co_ci_u32_e64 v1, s0, 0, v42, s0
	v_lshrrev_b32_e32 v2, 17, v2
	v_lshlrev_b32_e32 v34, 3, v3
	v_sub_nc_u16 v66, v78, v4
	global_load_dwordx4 v[16:19], v[0:1], off offset:1360
	v_add_co_u32 v26, s0, 0xd50, v28
	v_mul_lo_u16 v0, 0xd8, v2
	global_load_dwordx4 v[8:11], v34, s[8:9] offset:1680
	v_mul_u32_u24_sdwa v1, v66, v60 dst_sel:DWORD dst_unused:UNUSED_PAD src0_sel:WORD_0 src1_sel:DWORD
	v_add_co_ci_u32_e64 v27, s0, 0, v42, s0
	v_sub_nc_u16 v0, v79, v0
	v_cmp_lt_u32_e64 s0, 0x47, v36
	v_lshlrev_b32_e32 v40, 3, v1
	v_mul_u32_u24_e32 v44, 3, v59
	v_lshlrev_b32_e32 v45, 3, v70
	v_and_b32_e32 v67, 0xffff, v0
	v_cndmask_b32_e64 v43, 0, 0x1b00, s0
	global_load_dwordx4 v[4:7], v40, s[8:9] offset:1680
	v_lshlrev_b32_e32 v78, 3, v44
	v_mul_u32_u24_e32 v65, 0x1b00, v65
	v_mul_u32_u24_e32 v0, 3, v67
	v_add3_u32 v79, 0, v43, v45
	v_lshlrev_b32_sdwa v66, v60, v66 dst_sel:DWORD dst_unused:UNUSED_PAD src0_sel:DWORD src1_sel:WORD_0
	v_lshl_add_u32 v84, v67, 3, 0
	v_add_co_u32 v73, s0, 0x1800, v28
	v_lshlrev_b32_e32 v41, 3, v0
	s_clause 0x6
	global_load_dwordx4 v[0:3], v41, s[8:9] offset:1680
	global_load_dwordx2 v[24:25], v90, s[8:9] offset:1696
	global_load_dwordx2 v[30:31], v[32:33], off offset:1696
	global_load_dwordx2 v[26:27], v[26:27], off offset:16
	global_load_dwordx2 v[34:35], v34, s[8:9] offset:1696
	global_load_dwordx2 v[32:33], v40, s[8:9] offset:1696
	;; [unrolled: 1-line block ×3, first 2 shown]
	ds_read2_b64 v[43:46], v53 offset0:96 offset1:240
	ds_read2_b64 v[61:64], v49 offset0:64 offset1:208
	v_add3_u32 v83, 0, v65, v66
	ds_read2_b64 v[65:68], v51 offset1:144
	ds_read2_b64 v[69:72], v56 offset0:96 offset1:240
	v_add_nc_u32_e32 v75, 0xd00, v48
	v_add_co_ci_u32_e64 v74, s0, 0, v42, s0
	v_add_co_u32 v80, s0, s8, v78
	v_add_co_ci_u32_e64 v81, null, s9, 0, s0
	v_lshl_add_u32 v47, v47, 3, 0
	v_add_nc_u32_e32 v82, 0xd00, v79
	v_add_co_u32 v59, s0, 0x1800, v80
	v_add_nc_u32_e32 v76, 0x1d00, v48
	v_add_nc_u32_e32 v77, 0x2a00, v48
	v_add_co_ci_u32_e64 v60, s0, 0, v81, s0
	v_add_nc_u32_e32 v85, 0x3600, v47
	v_add_nc_u32_e32 v47, 0x4300, v47
	s_waitcnt vmcnt(11) lgkmcnt(3)
	v_mul_f32_e32 v86, v21, v44
	v_mul_f32_e32 v87, v21, v43
	s_waitcnt lgkmcnt(2)
	v_mul_f32_e32 v21, v23, v62
	v_mul_f32_e32 v88, v23, v61
	v_fma_f32 v43, v20, v43, -v86
	s_waitcnt vmcnt(10)
	v_mul_f32_e32 v23, v46, v13
	v_mul_f32_e32 v89, v45, v13
	v_fmac_f32_e32 v87, v20, v44
	v_fma_f32 v44, v22, v61, -v21
	v_mul_f32_e32 v13, v64, v15
	v_mul_f32_e32 v61, v63, v15
	v_fmac_f32_e32 v88, v22, v62
	v_fma_f32 v45, v45, v12, -v23
	v_fmac_f32_e32 v89, v46, v12
	ds_read2_b64 v[20:23], v55 offset0:32 offset1:176
	v_fma_f32 v46, v63, v14, -v13
	v_fmac_f32_e32 v61, v64, v14
	ds_read2_b64 v[12:15], v50 offset1:144
	v_add_nc_u32_e32 v86, 0xd00, v83
	s_waitcnt vmcnt(9) lgkmcnt(3)
	v_mul_f32_e32 v62, v66, v17
	v_mul_f32_e32 v63, v65, v17
	s_waitcnt lgkmcnt(2)
	v_mul_f32_e32 v17, v70, v19
	v_mul_f32_e32 v64, v69, v19
	s_waitcnt vmcnt(8)
	v_mul_f32_e32 v19, v68, v9
	v_fma_f32 v62, v65, v16, -v62
	v_fmac_f32_e32 v63, v66, v16
	v_fma_f32 v65, v69, v18, -v17
	v_fmac_f32_e32 v64, v70, v18
	v_mul_f32_e32 v66, v67, v9
	v_mul_f32_e32 v9, v72, v11
	;; [unrolled: 1-line block ×3, first 2 shown]
	v_fma_f32 v67, v67, v8, -v19
	ds_read2_b64 v[16:19], v57 offset0:32 offset1:176
	v_fmac_f32_e32 v66, v68, v8
	v_fma_f32 v68, v71, v10, -v9
	v_fmac_f32_e32 v70, v72, v10
	s_waitcnt vmcnt(7) lgkmcnt(2)
	v_mul_f32_e32 v11, v21, v5
	v_mul_f32_e32 v71, v20, v5
	s_waitcnt lgkmcnt(1)
	v_mul_f32_e32 v5, v13, v7
	v_mul_f32_e32 v72, v12, v7
	ds_read2_b64 v[7:10], v54 offset0:64 offset1:208
	v_fma_f32 v20, v20, v4, -v11
	v_fmac_f32_e32 v71, v21, v4
	v_fma_f32 v21, v12, v6, -v5
	v_fmac_f32_e32 v72, v13, v6
	v_add_nc_u32_e32 v69, 0x5000, v84
	v_add_nc_u32_e32 v84, 0x5e00, v84
	s_waitcnt vmcnt(6)
	v_mul_f32_e32 v4, v23, v1
	v_mul_f32_e32 v90, v22, v1
	;; [unrolled: 1-line block ×4, first 2 shown]
	v_fma_f32 v22, v22, v0, -v4
	v_fmac_f32_e32 v90, v23, v0
	ds_read2_b64 v[3:6], v58 offset0:96 offset1:240
	v_fma_f32 v0, v14, v2, -v1
	v_fmac_f32_e32 v91, v15, v2
	s_waitcnt vmcnt(5) lgkmcnt(2)
	v_mul_f32_e32 v1, v25, v17
	v_mul_f32_e32 v2, v25, v16
	s_waitcnt vmcnt(4)
	v_mul_f32_e32 v15, v19, v31
	v_mul_f32_e32 v23, v18, v31
	ds_read2_b64 v[11:14], v48 offset1:144
	v_fma_f32 v1, v24, v16, -v1
	v_fmac_f32_e32 v2, v24, v17
	s_waitcnt vmcnt(3) lgkmcnt(2)
	v_mul_f32_e32 v24, v8, v27
	v_mul_f32_e32 v25, v7, v27
	v_fma_f32 v27, v18, v30, -v15
	v_fmac_f32_e32 v23, v19, v30
	s_waitcnt vmcnt(2)
	v_mul_f32_e32 v19, v10, v35
	v_mul_f32_e32 v30, v9, v35
	ds_read2_b64 v[15:18], v52 offset0:32 offset1:176
	v_fma_f32 v24, v7, v26, -v24
	v_fmac_f32_e32 v25, v8, v26
	v_fma_f32 v19, v9, v34, -v19
	v_fmac_f32_e32 v30, v10, v34
	ds_read2_b64 v[7:10], v37 offset0:64 offset1:208
	s_waitcnt vmcnt(1) lgkmcnt(3)
	v_mul_f32_e32 v26, v4, v33
	v_mul_f32_e32 v31, v3, v33
	s_waitcnt vmcnt(0)
	v_mul_f32_e32 v33, v6, v41
	v_mul_f32_e32 v34, v5, v41
	v_sub_f32_e32 v1, v43, v1
	v_fma_f32 v3, v3, v32, -v26
	v_fmac_f32_e32 v31, v4, v32
	v_fma_f32 v4, v5, v40, -v33
	v_fmac_f32_e32 v34, v6, v40
	v_sub_f32_e32 v2, v87, v2
	s_waitcnt lgkmcnt(2)
	v_sub_f32_e32 v26, v11, v44
	v_sub_f32_e32 v32, v12, v88
	v_sub_f32_e32 v33, v13, v46
	v_sub_f32_e32 v35, v14, v61
	v_sub_f32_e32 v5, v45, v27
	v_sub_f32_e32 v6, v89, v23
	s_waitcnt lgkmcnt(1)
	v_sub_f32_e32 v23, v15, v65
	v_sub_f32_e32 v27, v16, v64
	v_sub_f32_e32 v24, v62, v24
	v_sub_f32_e32 v25, v63, v25
	v_sub_f32_e32 v40, v17, v68
	;; [unrolled: 7-line block ×3, first 2 shown]
	v_sub_f32_e32 v21, v66, v30
	v_sub_f32_e32 v30, v20, v3
	;; [unrolled: 1-line block ×5, first 2 shown]
	v_fma_f32 v43, v43, 2.0, -v1
	v_fma_f32 v68, v87, 2.0, -v2
	;; [unrolled: 1-line block ×12, first 2 shown]
	v_sub_f32_e32 v0, v26, v2
	v_add_f32_e32 v1, v32, v1
	v_add_f32_e32 v3, v35, v5
	v_sub_f32_e32 v4, v23, v25
	v_add_f32_e32 v5, v27, v24
	v_fma_f32 v93, v17, 2.0, -v40
	v_fma_f32 v94, v18, 2.0, -v41
	v_fma_f32 v95, v7, 2.0, -v44
	v_fma_f32 v96, v8, 2.0, -v46
	v_fma_f32 v97, v9, 2.0, -v61
	v_fma_f32 v98, v10, 2.0, -v64
	v_fma_f32 v24, v67, 2.0, -v19
	v_fma_f32 v25, v66, 2.0, -v21
	v_fma_f32 v66, v20, 2.0, -v30
	v_fma_f32 v67, v71, 2.0, -v31
	v_fma_f32 v71, v22, 2.0, -v65
	v_fma_f32 v90, v90, 2.0, -v34
	v_sub_f32_e32 v12, v70, v43
	v_sub_f32_e32 v13, v72, v68
	;; [unrolled: 1-line block ×9, first 2 shown]
	s_barrier
	buffer_gl0_inv
	v_add_f32_e32 v7, v41, v19
	v_add_f32_e32 v9, v46, v30
	v_sub_f32_e32 v10, v61, v34
	v_add_f32_e32 v11, v64, v65
	v_fma_f32 v14, v26, 2.0, -v0
	v_fma_f32 v15, v32, 2.0, -v1
	;; [unrolled: 1-line block ×3, first 2 shown]
	v_sub_f32_e32 v24, v93, v24
	v_sub_f32_e32 v25, v94, v25
	v_sub_f32_e32 v30, v95, v66
	v_sub_f32_e32 v31, v96, v67
	v_sub_f32_e32 v34, v97, v71
	v_sub_f32_e32 v35, v98, v90
	ds_write2_b64 v75, v[12:13], v[0:1] offset0:16 offset1:232
	v_fma_f32 v0, v70, 2.0, -v12
	v_fma_f32 v1, v72, 2.0, -v13
	;; [unrolled: 1-line block ×21, first 2 shown]
	ds_write2_b64 v48, v[0:1], v[14:15] offset1:216
	ds_write2_b64 v79, v[12:13], v[18:19] offset1:216
	ds_write2_b64 v82, v[16:17], v[2:3] offset0:16 offset1:232
	ds_write2_b64 v76, v[43:44], v[22:23] offset0:8 offset1:224
	;; [unrolled: 1-line block ×3, first 2 shown]
	ds_write2_b64 v85, v[45:46], v[26:27] offset1:216
	ds_write2_b64 v47, v[24:25], v[6:7] offset0:16 offset1:232
	ds_write2_b64 v83, v[61:62], v[32:33] offset1:216
	ds_write2_b64 v86, v[30:31], v[8:9] offset0:16 offset1:232
	ds_write2_b64 v69, v[63:64], v[40:41] offset0:32 offset1:248
	;; [unrolled: 1-line block ×3, first 2 shown]
	v_add_co_u32 v16, s0, 0x1ad0, v28
	v_add_co_ci_u32_e64 v17, s0, 0, v42, s0
	v_add_co_u32 v8, s0, 0x2800, v80
	v_add_nc_u32_e32 v14, 0x2880, v78
	v_add_co_ci_u32_e64 v9, s0, 0, v81, s0
	v_add_co_u32 v12, s0, 0x3000, v80
	v_add_co_ci_u32_e64 v13, s0, 0, v81, s0
	v_add_nc_u32_e32 v20, 0x3600, v78
	v_add_co_u32 v28, s0, s8, v14
	v_add_co_ci_u32_e64 v31, null, s9, 0, s0
	v_add_co_u32 v18, s0, 0x1ad0, v80
	s_waitcnt lgkmcnt(0)
	s_barrier
	buffer_gl0_inv
	s_clause 0x1
	global_load_dwordx4 v[0:3], v[73:74], off offset:720
	global_load_dwordx4 v[4:7], v[59:60], off offset:720
	v_add_co_ci_u32_e64 v19, s0, 0, v81, s0
	v_add_co_u32 v32, s0, s8, v20
	v_add_co_ci_u32_e64 v33, null, s9, 0, s0
	v_add_co_u32 v20, s0, 0x1800, v28
	v_add_co_ci_u32_e64 v21, s0, 0, v31, s0
	v_add_co_u32 v22, s0, 0x1800, v32
	v_add_co_ci_u32_e64 v23, s0, 0, v33, s0
	s_clause 0x1
	global_load_dwordx4 v[8:11], v[8:9], off offset:80
	global_load_dwordx4 v[12:15], v[12:13], off offset:1488
	v_add_co_u32 v24, s0, 0x2850, v80
	v_add_co_ci_u32_e64 v25, s0, 0, v81, s0
	v_add_co_u32 v26, s0, 0x35d0, v80
	v_add_co_ci_u32_e64 v27, s0, 0, v81, s0
	;; [unrolled: 2-line block ×3, first 2 shown]
	s_clause 0x5
	global_load_dwordx2 v[34:35], v[16:17], off offset:16
	global_load_dwordx2 v[75:76], v[18:19], off offset:16
	global_load_dwordx4 v[16:19], v[20:21], off offset:720
	global_load_dwordx4 v[20:23], v[22:23], off offset:720
	global_load_dwordx2 v[77:78], v[24:25], off offset:16
	global_load_dwordx2 v[79:80], v[26:27], off offset:16
	v_add_co_u32 v24, s0, 0x1ad0, v32
	v_add_co_ci_u32_e64 v25, s0, 0, v33, s0
	s_clause 0x1
	global_load_dwordx2 v[81:82], v[30:31], off offset:16
	global_load_dwordx2 v[83:84], v[24:25], off offset:16
	ds_read2_b64 v[24:27], v53 offset0:96 offset1:240
	ds_read2_b64 v[30:33], v49 offset0:64 offset1:208
	ds_read2_b64 v[40:43], v51 offset1:144
	ds_read2_b64 v[44:47], v56 offset0:96 offset1:240
	ds_read2_b64 v[59:62], v57 offset0:32 offset1:176
	;; [unrolled: 1-line block ×3, first 2 shown]
	ds_read2_b64 v[67:70], v50 offset1:144
	ds_read2_b64 v[71:74], v54 offset0:64 offset1:208
	s_waitcnt vmcnt(11) lgkmcnt(7)
	v_mul_f32_e32 v28, v1, v25
	v_mul_f32_e32 v85, v1, v24
	s_waitcnt lgkmcnt(6)
	v_mul_f32_e32 v1, v3, v31
	v_mul_f32_e32 v86, v3, v30
	s_waitcnt vmcnt(10)
	v_mul_f32_e32 v87, v27, v5
	v_mul_f32_e32 v88, v26, v5
	v_fma_f32 v28, v0, v24, -v28
	v_fmac_f32_e32 v85, v0, v25
	v_fma_f32 v30, v2, v30, -v1
	v_fmac_f32_e32 v86, v2, v31
	ds_read2_b64 v[0:3], v58 offset0:96 offset1:240
	v_mul_f32_e32 v5, v33, v7
	v_mul_f32_e32 v31, v32, v7
	v_fma_f32 v87, v26, v4, -v87
	v_fmac_f32_e32 v88, v27, v4
	ds_read2_b64 v[24:27], v48 offset1:144
	v_fma_f32 v32, v32, v6, -v5
	v_fmac_f32_e32 v31, v33, v6
	s_waitcnt vmcnt(9) lgkmcnt(7)
	v_mul_f32_e32 v4, v41, v9
	v_mul_f32_e32 v33, v40, v9
	s_waitcnt lgkmcnt(6)
	v_mul_f32_e32 v5, v45, v11
	v_mul_f32_e32 v89, v44, v11
	s_waitcnt vmcnt(8)
	v_mul_f32_e32 v9, v43, v13
	v_mul_f32_e32 v13, v42, v13
	v_fma_f32 v40, v40, v8, -v4
	v_fmac_f32_e32 v33, v41, v8
	v_fma_f32 v41, v44, v10, -v5
	v_fmac_f32_e32 v89, v45, v10
	ds_read2_b64 v[4:7], v52 offset0:32 offset1:176
	v_fma_f32 v42, v42, v12, -v9
	v_fmac_f32_e32 v13, v43, v12
	ds_read2_b64 v[8:11], v37 offset0:64 offset1:208
	v_mul_f32_e32 v12, v47, v15
	v_mul_f32_e32 v15, v46, v15
	s_waitcnt vmcnt(6) lgkmcnt(7)
	v_mul_f32_e32 v43, v62, v76
	v_mul_f32_e32 v44, v61, v76
	s_waitcnt vmcnt(5) lgkmcnt(6)
	v_mul_f32_e32 v45, v64, v17
	v_fma_f32 v12, v46, v14, -v12
	v_fmac_f32_e32 v15, v47, v14
	v_mul_f32_e32 v14, v35, v60
	v_mul_f32_e32 v35, v35, v59
	;; [unrolled: 1-line block ×3, first 2 shown]
	s_waitcnt lgkmcnt(5)
	v_mul_f32_e32 v46, v68, v19
	v_mul_f32_e32 v19, v67, v19
	v_fma_f32 v14, v34, v59, -v14
	v_fmac_f32_e32 v35, v34, v60
	s_waitcnt vmcnt(4)
	v_mul_f32_e32 v34, v66, v21
	v_mul_f32_e32 v21, v65, v21
	v_fma_f32 v43, v61, v75, -v43
	v_fmac_f32_e32 v44, v62, v75
	v_mul_f32_e32 v47, v70, v23
	v_mul_f32_e32 v23, v69, v23
	s_waitcnt vmcnt(3) lgkmcnt(4)
	v_mul_f32_e32 v59, v72, v78
	v_mul_f32_e32 v60, v71, v78
	s_waitcnt vmcnt(2)
	v_mul_f32_e32 v61, v74, v80
	v_mul_f32_e32 v62, v73, v80
	v_fma_f32 v45, v63, v16, -v45
	v_fmac_f32_e32 v17, v64, v16
	v_fma_f32 v16, v67, v18, -v46
	v_fmac_f32_e32 v19, v68, v18
	s_waitcnt vmcnt(1) lgkmcnt(3)
	v_mul_f32_e32 v18, v1, v82
	v_mul_f32_e32 v46, v0, v82
	s_waitcnt vmcnt(0)
	v_mul_f32_e32 v63, v3, v84
	v_mul_f32_e32 v64, v2, v84
	v_fma_f32 v34, v65, v20, -v34
	v_fmac_f32_e32 v21, v66, v20
	v_fma_f32 v20, v69, v22, -v47
	v_fmac_f32_e32 v23, v70, v22
	;; [unrolled: 2-line block ×6, first 2 shown]
	s_waitcnt lgkmcnt(2)
	v_sub_f32_e32 v18, v24, v30
	v_sub_f32_e32 v30, v25, v86
	v_sub_f32_e32 v32, v26, v32
	v_sub_f32_e32 v31, v27, v31
	s_waitcnt lgkmcnt(1)
	v_sub_f32_e32 v41, v4, v41
	v_sub_f32_e32 v59, v5, v89
	v_sub_f32_e32 v61, v6, v12
	v_sub_f32_e32 v63, v7, v15
	;; [unrolled: 5-line block ×3, first 2 shown]
	v_sub_f32_e32 v12, v85, v35
	v_sub_f32_e32 v14, v28, v14
	;; [unrolled: 1-line block ×12, first 2 shown]
	v_fma_f32 v47, v24, 2.0, -v18
	v_fma_f32 v60, v25, 2.0, -v30
	;; [unrolled: 1-line block ×12, first 2 shown]
	v_sub_f32_e32 v0, v18, v12
	v_add_f32_e32 v1, v30, v14
	v_sub_f32_e32 v2, v32, v15
	v_add_f32_e32 v3, v31, v16
	v_fma_f32 v14, v28, 2.0, -v14
	v_fma_f32 v24, v85, 2.0, -v12
	;; [unrolled: 1-line block ×6, first 2 shown]
	v_sub_f32_e32 v4, v41, v20
	v_fma_f32 v20, v42, 2.0, -v22
	v_fma_f32 v27, v13, 2.0, -v23
	;; [unrolled: 1-line block ×4, first 2 shown]
	v_add_f32_e32 v9, v66, v35
	v_fma_f32 v34, v34, 2.0, -v44
	v_fma_f32 v35, v21, 2.0, -v46
	v_add_f32_e32 v5, v59, v19
	v_sub_f32_e32 v6, v61, v23
	v_add_f32_e32 v7, v63, v22
	v_sub_f32_e32 v8, v65, v43
	v_sub_f32_e32 v10, v67, v46
	v_add_f32_e32 v11, v68, v44
	s_barrier
	buffer_gl0_inv
	v_fma_f32 v12, v18, 2.0, -v0
	v_fma_f32 v13, v30, 2.0, -v1
	ds_write2_b64 v57, v[0:1], v[2:3] offset0:32 offset1:176
	v_fma_f32 v0, v32, 2.0, -v2
	v_fma_f32 v1, v31, 2.0, -v3
	v_sub_f32_e32 v2, v47, v14
	v_sub_f32_e32 v3, v60, v24
	;; [unrolled: 1-line block ×12, first 2 shown]
	v_fma_f32 v18, v41, 2.0, -v4
	v_fma_f32 v19, v59, 2.0, -v5
	;; [unrolled: 1-line block ×8, first 2 shown]
	ds_write2_b64 v54, v[4:5], v[6:7] offset0:64 offset1:208
	ds_write2_b64 v58, v[8:9], v[10:11] offset0:96 offset1:240
	v_fma_f32 v4, v47, 2.0, -v2
	v_fma_f32 v5, v60, 2.0, -v3
	;; [unrolled: 1-line block ×12, first 2 shown]
	ds_write2_b64 v53, v[12:13], v[0:1] offset0:96 offset1:240
	ds_write2_b64 v49, v[2:3], v[14:15] offset0:64 offset1:208
	ds_write2_b64 v51, v[18:19], v[22:23] offset1:144
	ds_write2_b64 v56, v[16:17], v[20:21] offset0:96 offset1:240
	ds_write2_b64 v55, v[26:27], v[32:33] offset0:32 offset1:176
	ds_write2_b64 v50, v[24:25], v[30:31] offset1:144
	ds_write2_b64 v48, v[4:5], v[6:7] offset1:144
	ds_write2_b64 v52, v[8:9], v[10:11] offset0:32 offset1:176
	ds_write2_b64 v37, v[34:35], v[40:41] offset0:64 offset1:208
	s_waitcnt lgkmcnt(0)
	s_barrier
	buffer_gl0_inv
	s_and_saveexec_b32 s0, vcc_lo
	s_cbranch_execz .LBB0_19
; %bb.18:
	v_mov_b32_e32 v37, v29
	v_lshl_add_u32 v22, v36, 3, 0
	v_add_co_u32 v23, vcc_lo, s2, v38
	v_add_nc_u32_e32 v28, 0x90, v36
	v_lshlrev_b64 v[4:5], 3, v[36:37]
	ds_read2_b64 v[0:3], v22 offset1:144
	v_add_co_ci_u32_e32 v24, vcc_lo, s3, v39, vcc_lo
	v_add_nc_u32_e32 v6, 0x800, v22
	v_lshlrev_b64 v[8:9], 3, v[28:29]
	v_add_co_u32 v10, vcc_lo, v23, v4
	v_add_nc_u32_e32 v28, 0x120, v36
	v_add_co_ci_u32_e32 v11, vcc_lo, v24, v5, vcc_lo
	ds_read2_b64 v[4:7], v6 offset0:32 offset1:176
	v_add_co_u32 v8, vcc_lo, v23, v8
	v_lshlrev_b64 v[12:13], 3, v[28:29]
	v_add_nc_u32_e32 v28, 0x1b0, v36
	v_add_co_ci_u32_e32 v9, vcc_lo, v24, v9, vcc_lo
	v_add_nc_u32_e32 v16, 0x2400, v22
	s_waitcnt lgkmcnt(1)
	global_store_dwordx2 v[10:11], v[0:1], off
	global_store_dwordx2 v[8:9], v[2:3], off
	v_lshlrev_b64 v[14:15], 3, v[28:29]
	v_add_co_u32 v0, vcc_lo, v23, v12
	v_add_co_ci_u32_e32 v1, vcc_lo, v24, v13, vcc_lo
	v_add_nc_u32_e32 v28, 0x240, v36
	v_add_co_u32 v2, vcc_lo, v23, v14
	v_add_co_ci_u32_e32 v3, vcc_lo, v24, v15, vcc_lo
	v_add_nc_u32_e32 v10, 0x1000, v22
	s_waitcnt lgkmcnt(0)
	global_store_dwordx2 v[0:1], v[4:5], off
	v_add_nc_u32_e32 v4, 0x1800, v22
	v_lshlrev_b64 v[8:9], 3, v[28:29]
	v_add_nc_u32_e32 v28, 0x2d0, v36
	global_store_dwordx2 v[2:3], v[6:7], off
	ds_read2_b64 v[0:3], v10 offset0:64 offset1:208
	ds_read2_b64 v[4:7], v4 offset0:96 offset1:240
	v_lshlrev_b64 v[10:11], 3, v[28:29]
	v_add_nc_u32_e32 v28, 0x360, v36
	v_add_co_u32 v8, vcc_lo, v23, v8
	v_add_co_ci_u32_e32 v9, vcc_lo, v24, v9, vcc_lo
	v_lshlrev_b64 v[12:13], 3, v[28:29]
	v_add_co_u32 v10, vcc_lo, v23, v10
	v_add_co_ci_u32_e32 v11, vcc_lo, v24, v11, vcc_lo
	v_add_nc_u32_e32 v28, 0x3f0, v36
	v_add_co_u32 v12, vcc_lo, v23, v12
	v_add_co_ci_u32_e32 v13, vcc_lo, v24, v13, vcc_lo
	v_lshlrev_b64 v[14:15], 3, v[28:29]
	v_add_nc_u32_e32 v28, 0x480, v36
	s_waitcnt lgkmcnt(1)
	global_store_dwordx2 v[8:9], v[0:1], off
	global_store_dwordx2 v[10:11], v[2:3], off
	s_waitcnt lgkmcnt(0)
	global_store_dwordx2 v[12:13], v[4:5], off
	ds_read2_b64 v[0:3], v16 offset1:144
	v_lshlrev_b64 v[4:5], 3, v[28:29]
	v_add_nc_u32_e32 v28, 0x510, v36
	v_add_co_u32 v8, vcc_lo, v23, v14
	v_add_co_ci_u32_e32 v9, vcc_lo, v24, v15, vcc_lo
	v_lshlrev_b64 v[10:11], 3, v[28:29]
	v_add_nc_u32_e32 v28, 0x5a0, v36
	v_add_co_u32 v4, vcc_lo, v23, v4
	v_add_co_ci_u32_e32 v5, vcc_lo, v24, v5, vcc_lo
	v_add_co_u32 v10, vcc_lo, v23, v10
	v_lshlrev_b64 v[12:13], 3, v[28:29]
	v_add_nc_u32_e32 v28, 0x630, v36
	v_add_co_ci_u32_e32 v11, vcc_lo, v24, v11, vcc_lo
	global_store_dwordx2 v[8:9], v[6:7], off
	s_waitcnt lgkmcnt(0)
	global_store_dwordx2 v[4:5], v[0:1], off
	global_store_dwordx2 v[10:11], v[2:3], off
	v_lshlrev_b64 v[8:9], 3, v[28:29]
	v_add_nc_u32_e32 v28, 0x6c0, v36
	v_add_nc_u32_e32 v14, 0x2c00, v22
	;; [unrolled: 1-line block ×3, first 2 shown]
	v_add_co_u32 v12, vcc_lo, v23, v12
	v_lshlrev_b64 v[10:11], 3, v[28:29]
	v_add_nc_u32_e32 v28, 0x750, v36
	ds_read2_b64 v[0:3], v14 offset0:32 offset1:176
	v_add_co_ci_u32_e32 v13, vcc_lo, v24, v13, vcc_lo
	ds_read2_b64 v[4:7], v4 offset0:64 offset1:208
	v_add_co_u32 v14, vcc_lo, v23, v8
	v_add_co_ci_u32_e32 v15, vcc_lo, v24, v9, vcc_lo
	v_lshlrev_b64 v[8:9], 3, v[28:29]
	v_add_co_u32 v16, vcc_lo, v23, v10
	v_add_nc_u32_e32 v10, 0x3c00, v22
	v_add_co_ci_u32_e32 v17, vcc_lo, v24, v11, vcc_lo
	v_add_nc_u32_e32 v28, 0x7e0, v36
	v_add_co_u32 v18, vcc_lo, v23, v8
	v_add_co_ci_u32_e32 v19, vcc_lo, v24, v9, vcc_lo
	ds_read2_b64 v[8:11], v10 offset0:96 offset1:240
	v_lshlrev_b64 v[20:21], 3, v[28:29]
	v_add_nc_u32_e32 v28, 0x870, v36
	s_waitcnt lgkmcnt(2)
	global_store_dwordx2 v[12:13], v[0:1], off
	global_store_dwordx2 v[14:15], v[2:3], off
	s_waitcnt lgkmcnt(1)
	global_store_dwordx2 v[16:17], v[4:5], off
	global_store_dwordx2 v[18:19], v[6:7], off
	v_add_nc_u32_e32 v4, 0x4800, v22
	v_add_nc_u32_e32 v5, 0x5000, v22
	v_lshlrev_b64 v[0:1], 3, v[28:29]
	v_add_co_u32 v2, vcc_lo, v23, v20
	v_add_co_ci_u32_e32 v3, vcc_lo, v24, v21, vcc_lo
	v_add_nc_u32_e32 v28, 0x900, v36
	v_add_co_u32 v0, vcc_lo, v23, v0
	v_add_co_ci_u32_e32 v1, vcc_lo, v24, v1, vcc_lo
	v_lshlrev_b64 v[12:13], 3, v[28:29]
	v_add_nc_u32_e32 v28, 0x990, v36
	s_waitcnt lgkmcnt(0)
	global_store_dwordx2 v[2:3], v[8:9], off
	global_store_dwordx2 v[0:1], v[10:11], off
	ds_read2_b64 v[0:3], v4 offset1:144
	ds_read2_b64 v[4:7], v5 offset0:32 offset1:176
	v_lshlrev_b64 v[8:9], 3, v[28:29]
	v_add_nc_u32_e32 v28, 0xa20, v36
	v_add_co_u32 v10, vcc_lo, v23, v12
	v_add_co_ci_u32_e32 v11, vcc_lo, v24, v13, vcc_lo
	v_lshlrev_b64 v[12:13], 3, v[28:29]
	v_add_nc_u32_e32 v28, 0xab0, v36
	v_add_co_u32 v8, vcc_lo, v23, v8
	v_add_co_ci_u32_e32 v9, vcc_lo, v24, v9, vcc_lo
	v_add_co_u32 v12, vcc_lo, v23, v12
	v_lshlrev_b64 v[14:15], 3, v[28:29]
	v_add_nc_u32_e32 v28, 0xb40, v36
	v_add_co_ci_u32_e32 v13, vcc_lo, v24, v13, vcc_lo
	s_waitcnt lgkmcnt(1)
	global_store_dwordx2 v[10:11], v[0:1], off
	global_store_dwordx2 v[8:9], v[2:3], off
	s_waitcnt lgkmcnt(0)
	global_store_dwordx2 v[12:13], v[4:5], off
	v_add_nc_u32_e32 v0, 0x5800, v22
	v_lshlrev_b64 v[4:5], 3, v[28:29]
	v_add_nc_u32_e32 v28, 0xbd0, v36
	v_add_nc_u32_e32 v8, 0x6000, v22
	v_add_co_u32 v12, vcc_lo, v23, v14
	v_add_co_ci_u32_e32 v13, vcc_lo, v24, v15, vcc_lo
	ds_read2_b64 v[0:3], v0 offset0:64 offset1:208
	v_lshlrev_b64 v[14:15], 3, v[28:29]
	v_add_nc_u32_e32 v28, 0xc60, v36
	ds_read2_b64 v[8:11], v8 offset0:96 offset1:240
	v_add_co_u32 v4, vcc_lo, v23, v4
	v_add_co_ci_u32_e32 v5, vcc_lo, v24, v5, vcc_lo
	v_lshlrev_b64 v[16:17], 3, v[28:29]
	v_add_nc_u32_e32 v28, 0xcf0, v36
	v_add_co_u32 v14, vcc_lo, v23, v14
	v_add_co_ci_u32_e32 v15, vcc_lo, v24, v15, vcc_lo
	v_lshlrev_b64 v[18:19], 3, v[28:29]
	v_add_co_u32 v16, vcc_lo, v23, v16
	v_add_co_ci_u32_e32 v17, vcc_lo, v24, v17, vcc_lo
	v_add_co_u32 v18, vcc_lo, v23, v18
	v_add_co_ci_u32_e32 v19, vcc_lo, v24, v19, vcc_lo
	global_store_dwordx2 v[12:13], v[6:7], off
	s_waitcnt lgkmcnt(1)
	global_store_dwordx2 v[4:5], v[0:1], off
	global_store_dwordx2 v[14:15], v[2:3], off
	s_waitcnt lgkmcnt(0)
	global_store_dwordx2 v[16:17], v[8:9], off
	global_store_dwordx2 v[18:19], v[10:11], off
.LBB0_19:
	s_endpgm
	.section	.rodata,"a",@progbits
	.p2align	6, 0x0
	.amdhsa_kernel fft_rtc_fwd_len3456_factors_6_6_6_4_4_wgs_144_tpt_144_halfLds_sp_ip_CI_unitstride_sbrr_C2R_dirReg
		.amdhsa_group_segment_fixed_size 0
		.amdhsa_private_segment_fixed_size 0
		.amdhsa_kernarg_size 88
		.amdhsa_user_sgpr_count 6
		.amdhsa_user_sgpr_private_segment_buffer 1
		.amdhsa_user_sgpr_dispatch_ptr 0
		.amdhsa_user_sgpr_queue_ptr 0
		.amdhsa_user_sgpr_kernarg_segment_ptr 1
		.amdhsa_user_sgpr_dispatch_id 0
		.amdhsa_user_sgpr_flat_scratch_init 0
		.amdhsa_user_sgpr_private_segment_size 0
		.amdhsa_wavefront_size32 1
		.amdhsa_uses_dynamic_stack 0
		.amdhsa_system_sgpr_private_segment_wavefront_offset 0
		.amdhsa_system_sgpr_workgroup_id_x 1
		.amdhsa_system_sgpr_workgroup_id_y 0
		.amdhsa_system_sgpr_workgroup_id_z 0
		.amdhsa_system_sgpr_workgroup_info 0
		.amdhsa_system_vgpr_workitem_id 0
		.amdhsa_next_free_vgpr 102
		.amdhsa_next_free_sgpr 21
		.amdhsa_reserve_vcc 1
		.amdhsa_reserve_flat_scratch 0
		.amdhsa_float_round_mode_32 0
		.amdhsa_float_round_mode_16_64 0
		.amdhsa_float_denorm_mode_32 3
		.amdhsa_float_denorm_mode_16_64 3
		.amdhsa_dx10_clamp 1
		.amdhsa_ieee_mode 1
		.amdhsa_fp16_overflow 0
		.amdhsa_workgroup_processor_mode 1
		.amdhsa_memory_ordered 1
		.amdhsa_forward_progress 0
		.amdhsa_shared_vgpr_count 0
		.amdhsa_exception_fp_ieee_invalid_op 0
		.amdhsa_exception_fp_denorm_src 0
		.amdhsa_exception_fp_ieee_div_zero 0
		.amdhsa_exception_fp_ieee_overflow 0
		.amdhsa_exception_fp_ieee_underflow 0
		.amdhsa_exception_fp_ieee_inexact 0
		.amdhsa_exception_int_div_zero 0
	.end_amdhsa_kernel
	.text
.Lfunc_end0:
	.size	fft_rtc_fwd_len3456_factors_6_6_6_4_4_wgs_144_tpt_144_halfLds_sp_ip_CI_unitstride_sbrr_C2R_dirReg, .Lfunc_end0-fft_rtc_fwd_len3456_factors_6_6_6_4_4_wgs_144_tpt_144_halfLds_sp_ip_CI_unitstride_sbrr_C2R_dirReg
                                        ; -- End function
	.section	.AMDGPU.csdata,"",@progbits
; Kernel info:
; codeLenInByte = 13892
; NumSgprs: 23
; NumVgprs: 102
; ScratchSize: 0
; MemoryBound: 0
; FloatMode: 240
; IeeeMode: 1
; LDSByteSize: 0 bytes/workgroup (compile time only)
; SGPRBlocks: 2
; VGPRBlocks: 12
; NumSGPRsForWavesPerEU: 23
; NumVGPRsForWavesPerEU: 102
; Occupancy: 9
; WaveLimiterHint : 1
; COMPUTE_PGM_RSRC2:SCRATCH_EN: 0
; COMPUTE_PGM_RSRC2:USER_SGPR: 6
; COMPUTE_PGM_RSRC2:TRAP_HANDLER: 0
; COMPUTE_PGM_RSRC2:TGID_X_EN: 1
; COMPUTE_PGM_RSRC2:TGID_Y_EN: 0
; COMPUTE_PGM_RSRC2:TGID_Z_EN: 0
; COMPUTE_PGM_RSRC2:TIDIG_COMP_CNT: 0
	.text
	.p2alignl 6, 3214868480
	.fill 48, 4, 3214868480
	.type	__hip_cuid_b8a5e814a661c91d,@object ; @__hip_cuid_b8a5e814a661c91d
	.section	.bss,"aw",@nobits
	.globl	__hip_cuid_b8a5e814a661c91d
__hip_cuid_b8a5e814a661c91d:
	.byte	0                               ; 0x0
	.size	__hip_cuid_b8a5e814a661c91d, 1

	.ident	"AMD clang version 19.0.0git (https://github.com/RadeonOpenCompute/llvm-project roc-6.4.0 25133 c7fe45cf4b819c5991fe208aaa96edf142730f1d)"
	.section	".note.GNU-stack","",@progbits
	.addrsig
	.addrsig_sym __hip_cuid_b8a5e814a661c91d
	.amdgpu_metadata
---
amdhsa.kernels:
  - .args:
      - .actual_access:  read_only
        .address_space:  global
        .offset:         0
        .size:           8
        .value_kind:     global_buffer
      - .offset:         8
        .size:           8
        .value_kind:     by_value
      - .actual_access:  read_only
        .address_space:  global
        .offset:         16
        .size:           8
        .value_kind:     global_buffer
      - .actual_access:  read_only
        .address_space:  global
        .offset:         24
        .size:           8
        .value_kind:     global_buffer
      - .offset:         32
        .size:           8
        .value_kind:     by_value
      - .actual_access:  read_only
        .address_space:  global
        .offset:         40
        .size:           8
        .value_kind:     global_buffer
      - .actual_access:  read_only
        .address_space:  global
        .offset:         48
        .size:           8
        .value_kind:     global_buffer
      - .offset:         56
        .size:           4
        .value_kind:     by_value
      - .actual_access:  read_only
        .address_space:  global
        .offset:         64
        .size:           8
        .value_kind:     global_buffer
      - .actual_access:  read_only
        .address_space:  global
        .offset:         72
        .size:           8
        .value_kind:     global_buffer
      - .address_space:  global
        .offset:         80
        .size:           8
        .value_kind:     global_buffer
    .group_segment_fixed_size: 0
    .kernarg_segment_align: 8
    .kernarg_segment_size: 88
    .language:       OpenCL C
    .language_version:
      - 2
      - 0
    .max_flat_workgroup_size: 144
    .name:           fft_rtc_fwd_len3456_factors_6_6_6_4_4_wgs_144_tpt_144_halfLds_sp_ip_CI_unitstride_sbrr_C2R_dirReg
    .private_segment_fixed_size: 0
    .sgpr_count:     23
    .sgpr_spill_count: 0
    .symbol:         fft_rtc_fwd_len3456_factors_6_6_6_4_4_wgs_144_tpt_144_halfLds_sp_ip_CI_unitstride_sbrr_C2R_dirReg.kd
    .uniform_work_group_size: 1
    .uses_dynamic_stack: false
    .vgpr_count:     102
    .vgpr_spill_count: 0
    .wavefront_size: 32
    .workgroup_processor_mode: 1
amdhsa.target:   amdgcn-amd-amdhsa--gfx1030
amdhsa.version:
  - 1
  - 2
...

	.end_amdgpu_metadata
